;; amdgpu-corpus repo=ROCm/rocFFT kind=compiled arch=gfx950 opt=O3
	.text
	.amdgcn_target "amdgcn-amd-amdhsa--gfx950"
	.amdhsa_code_object_version 6
	.protected	fft_rtc_fwd_len1632_factors_17_2_2_3_8_wgs_102_tpt_102_halfLds_half_op_CI_CI_sbrr_dirReg ; -- Begin function fft_rtc_fwd_len1632_factors_17_2_2_3_8_wgs_102_tpt_102_halfLds_half_op_CI_CI_sbrr_dirReg
	.globl	fft_rtc_fwd_len1632_factors_17_2_2_3_8_wgs_102_tpt_102_halfLds_half_op_CI_CI_sbrr_dirReg
	.p2align	8
	.type	fft_rtc_fwd_len1632_factors_17_2_2_3_8_wgs_102_tpt_102_halfLds_half_op_CI_CI_sbrr_dirReg,@function
fft_rtc_fwd_len1632_factors_17_2_2_3_8_wgs_102_tpt_102_halfLds_half_op_CI_CI_sbrr_dirReg: ; @fft_rtc_fwd_len1632_factors_17_2_2_3_8_wgs_102_tpt_102_halfLds_half_op_CI_CI_sbrr_dirReg
; %bb.0:
	s_load_dwordx4 s[12:15], s[0:1], 0x18
	s_load_dwordx4 s[8:11], s[0:1], 0x0
	;; [unrolled: 1-line block ×3, first 2 shown]
	v_mul_u32_u24_e32 v1, 0x283, v0
	v_add_u32_sdwa v10, s2, v1 dst_sel:DWORD dst_unused:UNUSED_PAD src0_sel:DWORD src1_sel:WORD_1
	s_waitcnt lgkmcnt(0)
	s_load_dwordx2 s[18:19], s[12:13], 0x0
	s_load_dwordx2 s[16:17], s[14:15], 0x0
	v_mov_b32_e32 v8, 0
	v_cmp_lt_u64_e64 s[2:3], s[10:11], 2
	v_mov_b32_e32 v11, v8
	s_and_b64 vcc, exec, s[2:3]
	v_mov_b64_e32 v[6:7], 0
	s_cbranch_vccnz .LBB0_8
; %bb.1:
	s_load_dwordx2 s[2:3], s[0:1], 0x10
	s_add_u32 s20, s14, 8
	s_addc_u32 s21, s15, 0
	s_add_u32 s22, s12, 8
	s_addc_u32 s23, s13, 0
	s_waitcnt lgkmcnt(0)
	s_add_u32 s24, s2, 8
	v_mov_b64_e32 v[6:7], 0
	s_addc_u32 s25, s3, 0
	s_mov_b64 s[26:27], 1
	v_mov_b64_e32 v[2:3], v[6:7]
.LBB0_2:                                ; =>This Inner Loop Header: Depth=1
	s_load_dwordx2 s[28:29], s[24:25], 0x0
                                        ; implicit-def: $vgpr4_vgpr5
	s_waitcnt lgkmcnt(0)
	v_or_b32_e32 v9, s29, v11
	v_cmp_ne_u64_e32 vcc, 0, v[8:9]
	s_and_saveexec_b64 s[2:3], vcc
	s_xor_b64 s[30:31], exec, s[2:3]
	s_cbranch_execz .LBB0_4
; %bb.3:                                ;   in Loop: Header=BB0_2 Depth=1
	v_cvt_f32_u32_e32 v1, s28
	v_cvt_f32_u32_e32 v4, s29
	s_sub_u32 s2, 0, s28
	s_subb_u32 s3, 0, s29
	v_fmac_f32_e32 v1, 0x4f800000, v4
	v_rcp_f32_e32 v1, v1
	s_nop 0
	v_mul_f32_e32 v1, 0x5f7ffffc, v1
	v_mul_f32_e32 v4, 0x2f800000, v1
	v_trunc_f32_e32 v4, v4
	v_fmac_f32_e32 v1, 0xcf800000, v4
	v_cvt_u32_f32_e32 v9, v4
	v_cvt_u32_f32_e32 v1, v1
	v_mul_lo_u32 v4, s2, v9
	v_mul_hi_u32 v12, s2, v1
	v_mul_lo_u32 v5, s3, v1
	v_add_u32_e32 v12, v12, v4
	v_mul_lo_u32 v14, s2, v1
	v_add_u32_e32 v15, v12, v5
	v_mul_hi_u32 v4, v1, v14
	v_mul_hi_u32 v13, v1, v15
	v_mul_lo_u32 v12, v1, v15
	v_mov_b32_e32 v5, v8
	v_lshl_add_u64 v[4:5], v[4:5], 0, v[12:13]
	v_mul_hi_u32 v13, v9, v14
	v_mul_lo_u32 v14, v9, v14
	v_add_co_u32_e32 v4, vcc, v4, v14
	v_mul_hi_u32 v12, v9, v15
	s_nop 0
	v_addc_co_u32_e32 v4, vcc, v5, v13, vcc
	v_mov_b32_e32 v5, v8
	s_nop 0
	v_addc_co_u32_e32 v13, vcc, 0, v12, vcc
	v_mul_lo_u32 v12, v9, v15
	v_lshl_add_u64 v[4:5], v[4:5], 0, v[12:13]
	v_add_co_u32_e32 v1, vcc, v1, v4
	v_mul_lo_u32 v12, s2, v1
	s_nop 0
	v_addc_co_u32_e32 v9, vcc, v9, v5, vcc
	v_mul_lo_u32 v4, s2, v9
	v_mul_hi_u32 v5, s2, v1
	v_add_u32_e32 v4, v5, v4
	v_mul_lo_u32 v5, s3, v1
	v_add_u32_e32 v14, v4, v5
	v_mul_hi_u32 v16, v9, v12
	v_mul_lo_u32 v17, v9, v12
	v_mul_hi_u32 v5, v1, v14
	v_mul_lo_u32 v4, v1, v14
	v_mul_hi_u32 v12, v1, v12
	v_mov_b32_e32 v13, v8
	v_lshl_add_u64 v[4:5], v[12:13], 0, v[4:5]
	v_add_co_u32_e32 v4, vcc, v4, v17
	v_mul_hi_u32 v15, v9, v14
	s_nop 0
	v_addc_co_u32_e32 v4, vcc, v5, v16, vcc
	v_mul_lo_u32 v12, v9, v14
	s_nop 0
	v_addc_co_u32_e32 v13, vcc, 0, v15, vcc
	v_mov_b32_e32 v5, v8
	v_lshl_add_u64 v[4:5], v[4:5], 0, v[12:13]
	v_add_co_u32_e32 v1, vcc, v1, v4
	v_mul_hi_u32 v12, v10, v1
	s_nop 0
	v_addc_co_u32_e32 v9, vcc, v9, v5, vcc
	v_mad_u64_u32 v[4:5], s[2:3], v10, v9, 0
	v_mov_b32_e32 v13, v8
	v_lshl_add_u64 v[4:5], v[12:13], 0, v[4:5]
	v_mad_u64_u32 v[14:15], s[2:3], v11, v1, 0
	v_add_co_u32_e32 v1, vcc, v4, v14
	v_mad_u64_u32 v[12:13], s[2:3], v11, v9, 0
	s_nop 0
	v_addc_co_u32_e32 v4, vcc, v5, v15, vcc
	v_mov_b32_e32 v5, v8
	s_nop 0
	v_addc_co_u32_e32 v13, vcc, 0, v13, vcc
	v_lshl_add_u64 v[4:5], v[4:5], 0, v[12:13]
	v_mul_lo_u32 v1, s29, v4
	v_mul_lo_u32 v9, s28, v5
	v_mad_u64_u32 v[12:13], s[2:3], s28, v4, 0
	v_add3_u32 v1, v13, v9, v1
	v_sub_u32_e32 v9, v11, v1
	v_mov_b32_e32 v13, s29
	v_sub_co_u32_e32 v16, vcc, v10, v12
	v_lshl_add_u64 v[14:15], v[4:5], 0, 1
	s_nop 0
	v_subb_co_u32_e64 v9, s[2:3], v9, v13, vcc
	v_subrev_co_u32_e64 v12, s[2:3], s28, v16
	v_subb_co_u32_e32 v1, vcc, v11, v1, vcc
	s_nop 0
	v_subbrev_co_u32_e64 v9, s[2:3], 0, v9, s[2:3]
	v_cmp_le_u32_e64 s[2:3], s29, v9
	v_cmp_le_u32_e32 vcc, s29, v1
	s_nop 0
	v_cndmask_b32_e64 v13, 0, -1, s[2:3]
	v_cmp_le_u32_e64 s[2:3], s28, v12
	s_nop 1
	v_cndmask_b32_e64 v12, 0, -1, s[2:3]
	v_cmp_eq_u32_e64 s[2:3], s29, v9
	s_nop 1
	v_cndmask_b32_e64 v9, v13, v12, s[2:3]
	v_lshl_add_u64 v[12:13], v[4:5], 0, 2
	v_cmp_ne_u32_e64 s[2:3], 0, v9
	s_nop 1
	v_cndmask_b32_e64 v9, v15, v13, s[2:3]
	v_cndmask_b32_e64 v13, 0, -1, vcc
	v_cmp_le_u32_e32 vcc, s28, v16
	s_nop 1
	v_cndmask_b32_e64 v15, 0, -1, vcc
	v_cmp_eq_u32_e32 vcc, s29, v1
	s_nop 1
	v_cndmask_b32_e32 v1, v13, v15, vcc
	v_cmp_ne_u32_e32 vcc, 0, v1
	v_cndmask_b32_e64 v1, v14, v12, s[2:3]
	s_nop 0
	v_cndmask_b32_e32 v5, v5, v9, vcc
	v_cndmask_b32_e32 v4, v4, v1, vcc
.LBB0_4:                                ;   in Loop: Header=BB0_2 Depth=1
	s_andn2_saveexec_b64 s[2:3], s[30:31]
	s_cbranch_execz .LBB0_6
; %bb.5:                                ;   in Loop: Header=BB0_2 Depth=1
	v_cvt_f32_u32_e32 v1, s28
	s_sub_i32 s30, 0, s28
	v_rcp_iflag_f32_e32 v1, v1
	s_nop 0
	v_mul_f32_e32 v1, 0x4f7ffffe, v1
	v_cvt_u32_f32_e32 v1, v1
	v_mul_lo_u32 v4, s30, v1
	v_mul_hi_u32 v4, v1, v4
	v_add_u32_e32 v1, v1, v4
	v_mul_hi_u32 v1, v10, v1
	v_mul_lo_u32 v4, v1, s28
	v_sub_u32_e32 v4, v10, v4
	v_add_u32_e32 v5, 1, v1
	v_subrev_u32_e32 v9, s28, v4
	v_cmp_le_u32_e32 vcc, s28, v4
	s_nop 1
	v_cndmask_b32_e32 v4, v4, v9, vcc
	v_cndmask_b32_e32 v1, v1, v5, vcc
	v_add_u32_e32 v5, 1, v1
	v_cmp_le_u32_e32 vcc, s28, v4
	s_nop 1
	v_cndmask_b32_e32 v4, v1, v5, vcc
	v_mov_b32_e32 v5, v8
.LBB0_6:                                ;   in Loop: Header=BB0_2 Depth=1
	s_or_b64 exec, exec, s[2:3]
	v_mad_u64_u32 v[12:13], s[2:3], v4, s28, 0
	s_load_dwordx2 s[2:3], s[22:23], 0x0
	v_mul_lo_u32 v1, v5, s28
	v_mul_lo_u32 v9, v4, s29
	s_load_dwordx2 s[28:29], s[20:21], 0x0
	s_add_u32 s26, s26, 1
	v_add3_u32 v1, v13, v9, v1
	v_sub_co_u32_e32 v9, vcc, v10, v12
	s_addc_u32 s27, s27, 0
	s_nop 0
	v_subb_co_u32_e32 v1, vcc, v11, v1, vcc
	s_add_u32 s20, s20, 8
	s_waitcnt lgkmcnt(0)
	v_mul_lo_u32 v10, s2, v1
	v_mul_lo_u32 v11, s3, v9
	v_mad_u64_u32 v[6:7], s[2:3], s2, v9, v[6:7]
	s_addc_u32 s21, s21, 0
	v_add3_u32 v7, v11, v7, v10
	v_mul_lo_u32 v1, s28, v1
	v_mul_lo_u32 v10, s29, v9
	v_mad_u64_u32 v[2:3], s[2:3], s28, v9, v[2:3]
	s_add_u32 s22, s22, 8
	v_add3_u32 v3, v10, v3, v1
	s_addc_u32 s23, s23, 0
	v_mov_b64_e32 v[10:11], s[10:11]
	s_add_u32 s24, s24, 8
	v_cmp_ge_u64_e32 vcc, s[26:27], v[10:11]
	s_addc_u32 s25, s25, 0
	s_cbranch_vccnz .LBB0_9
; %bb.7:                                ;   in Loop: Header=BB0_2 Depth=1
	v_mov_b64_e32 v[10:11], v[4:5]
	s_branch .LBB0_2
.LBB0_8:
	v_mov_b64_e32 v[2:3], v[6:7]
	v_mov_b64_e32 v[4:5], v[10:11]
.LBB0_9:
	s_load_dwordx2 s[0:1], s[0:1], 0x28
	s_lshl_b64 s[20:21], s[10:11], 3
	s_mov_b32 s10, 0x2828283
	v_mul_hi_u32 v1, v0, s10
	v_mul_u32_u24_e32 v1, 0x66, v1
	s_waitcnt lgkmcnt(0)
	v_cmp_gt_u64_e32 vcc, s[0:1], v[4:5]
	v_sub_u32_e32 v8, v0, v1
	s_movk_i32 s0, 0x60
	s_add_u32 s2, s14, s20
	v_cmp_gt_u32_e64 s[0:1], s0, v8
	s_addc_u32 s3, s15, s21
	s_and_b64 s[14:15], vcc, s[0:1]
	v_mov_b32_e32 v11, 0
	v_mov_b32_e32 v16, 0
                                        ; implicit-def: $vgpr18
                                        ; implicit-def: $vgpr1
                                        ; implicit-def: $vgpr19
                                        ; implicit-def: $vgpr9
                                        ; implicit-def: $vgpr20
                                        ; implicit-def: $vgpr10
                                        ; implicit-def: $vgpr21
                                        ; implicit-def: $vgpr12
                                        ; implicit-def: $vgpr22
                                        ; implicit-def: $vgpr13
                                        ; implicit-def: $vgpr23
                                        ; implicit-def: $vgpr14
                                        ; implicit-def: $vgpr24
                                        ; implicit-def: $vgpr15
                                        ; implicit-def: $vgpr25
                                        ; implicit-def: $vgpr17
                                        ; implicit-def: $vgpr26
                                        ; implicit-def: $vgpr27
                                        ; implicit-def: $vgpr28
                                        ; implicit-def: $vgpr34
                                        ; implicit-def: $vgpr29
                                        ; implicit-def: $vgpr36
                                        ; implicit-def: $vgpr30
                                        ; implicit-def: $vgpr37
                                        ; implicit-def: $vgpr31
                                        ; implicit-def: $vgpr38
                                        ; implicit-def: $vgpr32
                                        ; implicit-def: $vgpr39
                                        ; implicit-def: $vgpr33
                                        ; implicit-def: $vgpr40
                                        ; implicit-def: $vgpr35
                                        ; implicit-def: $vgpr41
	s_and_saveexec_b64 s[10:11], s[14:15]
	s_cbranch_execz .LBB0_11
; %bb.10:
	s_add_u32 s12, s12, s20
	s_addc_u32 s13, s13, s21
	s_load_dwordx2 s[12:13], s[12:13], 0x0
	s_waitcnt lgkmcnt(0)
	v_mul_lo_u32 v9, s13, v4
	v_mul_lo_u32 v10, s12, v5
	v_mad_u64_u32 v[0:1], s[12:13], s12, v4, 0
	v_add3_u32 v1, v1, v10, v9
	v_mad_u64_u32 v[10:11], s[12:13], s18, v8, 0
	v_mov_b32_e32 v12, v11
	v_mad_u64_u32 v[12:13], s[12:13], s19, v8, v[12:13]
	v_lshl_add_u64 v[0:1], v[0:1], 2, s[4:5]
	v_add_u32_e32 v9, 0x60, v8
	v_mov_b32_e32 v11, v12
	v_lshl_add_u64 v[6:7], v[6:7], 2, v[0:1]
	v_mad_u64_u32 v[0:1], s[4:5], s18, v9, 0
	v_lshl_add_u64 v[18:19], v[10:11], 2, v[6:7]
	v_mov_b32_e32 v10, v1
	v_mad_u64_u32 v[10:11], s[4:5], s19, v9, v[10:11]
	v_mov_b32_e32 v1, v10
	v_add_u32_e32 v9, 0xc0, v8
	v_lshl_add_u64 v[20:21], v[0:1], 2, v[6:7]
	v_mad_u64_u32 v[0:1], s[4:5], s18, v9, 0
	v_mov_b32_e32 v10, v1
	v_mad_u64_u32 v[10:11], s[4:5], s19, v9, v[10:11]
	v_mov_b32_e32 v1, v10
	v_add_u32_e32 v9, 0x120, v8
	v_lshl_add_u64 v[22:23], v[0:1], 2, v[6:7]
	v_mad_u64_u32 v[0:1], s[4:5], s18, v9, 0
	v_mov_b32_e32 v10, v1
	v_mad_u64_u32 v[10:11], s[4:5], s19, v9, v[10:11]
	v_mov_b32_e32 v1, v10
	v_or_b32_e32 v9, 0x180, v8
	v_lshl_add_u64 v[24:25], v[0:1], 2, v[6:7]
	v_mad_u64_u32 v[0:1], s[4:5], s18, v9, 0
	v_mov_b32_e32 v10, v1
	v_mad_u64_u32 v[10:11], s[4:5], s19, v9, v[10:11]
	v_mov_b32_e32 v1, v10
	v_add_u32_e32 v9, 0x1e0, v8
	v_lshl_add_u64 v[26:27], v[0:1], 2, v[6:7]
	v_mad_u64_u32 v[0:1], s[4:5], s18, v9, 0
	v_mov_b32_e32 v10, v1
	v_mad_u64_u32 v[10:11], s[4:5], s19, v9, v[10:11]
	v_mov_b32_e32 v1, v10
	v_add_u32_e32 v9, 0x240, v8
	;; [unrolled: 6-line block ×3, first 2 shown]
	v_lshl_add_u64 v[30:31], v[0:1], 2, v[6:7]
	v_mad_u64_u32 v[0:1], s[4:5], s18, v9, 0
	v_mov_b32_e32 v10, v1
	v_mad_u64_u32 v[10:11], s[4:5], s19, v9, v[10:11]
	v_mov_b32_e32 v1, v10
	v_lshl_add_u64 v[32:33], v[0:1], 2, v[6:7]
	global_load_dword v16, v[18:19], off
	global_load_dword v1, v[20:21], off
	;; [unrolled: 1-line block ×8, first 2 shown]
	v_or_b32_e32 v11, 0x300, v8
	v_mad_u64_u32 v[18:19], s[4:5], s18, v11, 0
	v_mov_b32_e32 v0, v19
	s_waitcnt vmcnt(6)
	v_mad_u64_u32 v[20:21], s[4:5], s19, v11, v[0:1]
	v_add_u32_e32 v11, 0x360, v8
	v_mov_b32_e32 v19, v20
	v_mad_u64_u32 v[20:21], s[4:5], s18, v11, 0
	v_mov_b32_e32 v0, v21
	v_mad_u64_u32 v[22:23], s[4:5], s19, v11, v[0:1]
	v_add_u32_e32 v11, 0x3c0, v8
	v_mov_b32_e32 v21, v22
	v_mad_u64_u32 v[22:23], s[4:5], s18, v11, 0
	v_mov_b32_e32 v0, v23
	;; [unrolled: 5-line block ×3, first 2 shown]
	v_mad_u64_u32 v[26:27], s[4:5], s19, v11, v[0:1]
	v_or_b32_e32 v11, 0x480, v8
	v_mov_b32_e32 v25, v26
	v_mad_u64_u32 v[26:27], s[4:5], s18, v11, 0
	v_mov_b32_e32 v0, v27
	v_mad_u64_u32 v[28:29], s[4:5], s19, v11, v[0:1]
	v_mov_b32_e32 v27, v28
	v_add_u32_e32 v11, 0x4e0, v8
	v_lshl_add_u64 v[28:29], v[26:27], 2, v[6:7]
	v_mad_u64_u32 v[26:27], s[4:5], s18, v11, 0
	v_mov_b32_e32 v0, v27
	v_mad_u64_u32 v[30:31], s[4:5], s19, v11, v[0:1]
	v_mov_b32_e32 v27, v30
	v_add_u32_e32 v11, 0x540, v8
	v_lshl_add_u64 v[30:31], v[26:27], 2, v[6:7]
	;; [unrolled: 6-line block ×3, first 2 shown]
	v_mad_u64_u32 v[26:27], s[4:5], s18, v11, 0
	v_mov_b32_e32 v0, v27
	v_mad_u64_u32 v[34:35], s[4:5], s19, v11, v[0:1]
	v_lshl_add_u64 v[18:19], v[18:19], 2, v[6:7]
	v_mov_b32_e32 v27, v34
	v_or_b32_e32 v11, 0x600, v8
	v_lshl_add_u64 v[20:21], v[20:21], 2, v[6:7]
	v_lshl_add_u64 v[22:23], v[22:23], 2, v[6:7]
	;; [unrolled: 1-line block ×4, first 2 shown]
	global_load_dword v17, v[18:19], off
	global_load_dword v27, v[20:21], off
	;; [unrolled: 1-line block ×8, first 2 shown]
	v_mad_u64_u32 v[18:19], s[4:5], s18, v11, 0
	v_mov_b32_e32 v0, v19
	v_mad_u64_u32 v[20:21], s[4:5], s19, v11, v[0:1]
	v_mov_b32_e32 v19, v20
	v_lshl_add_u64 v[6:7], v[18:19], 2, v[6:7]
	global_load_dword v41, v[6:7], off
	v_lshrrev_b32_e32 v11, 16, v16
	v_lshrrev_b32_e32 v18, 16, v1
	s_waitcnt vmcnt(14)
	v_lshrrev_b32_e32 v19, 16, v9
	s_waitcnt vmcnt(13)
	;; [unrolled: 2-line block ×15, first 2 shown]
	v_lshrrev_b32_e32 v35, 16, v41
.LBB0_11:
	s_or_b64 exec, exec, s[10:11]
	v_add_f16_e32 v48, v1, v41
	v_sub_f16_e32 v6, v18, v35
	v_mul_f16_e32 v56, 0x3b76, v48
	s_mov_b32 s4, 0xb5c8
	v_add_f16_e32 v49, v9, v40
	v_fma_f16 v0, v6, s4, v56
	v_sub_f16_e32 v7, v19, v33
	v_mul_f16_e32 v57, 0x39e9, v49
	s_mov_b32 s4, 0xb964
	v_add_f16_e32 v0, v16, v0
	v_fma_f16 v42, v7, s4, v57
	v_add_f16_e32 v50, v10, v39
	v_add_f16_e32 v0, v42, v0
	v_sub_f16_e32 v42, v20, v32
	v_mul_f16_e32 v58, 0x3722, v50
	s_mov_b32 s4, 0xbb29
	v_fma_f16 v43, v42, s4, v58
	v_add_f16_e32 v51, v12, v38
	v_add_f16_e32 v0, v43, v0
	v_sub_f16_e32 v43, v21, v31
	v_mul_f16_e32 v59, 0x2de8, v51
	s_mov_b32 s4, 0xbbf7
	;; [unrolled: 6-line block ×6, first 2 shown]
	v_fma_f16 v64, v47, s4, v63
	s_movk_i32 s10, 0x3b76
	s_movk_i32 s11, 0x39e9
	;; [unrolled: 1-line block ×4, first 2 shown]
	s_mov_b32 s14, 0xb461
	s_mov_b32 s15, 0xb8d2
	;; [unrolled: 1-line block ×4, first 2 shown]
	v_add_f16_e32 v0, v64, v0
	s_and_saveexec_b64 s[4:5], s[0:1]
	s_cbranch_execz .LBB0_13
; %bb.12:
	s_mov_b32 s28, 0x372239e9
	v_pk_mul_f16 v79, v48, s28 op_sel_hi:[0,1]
	s_mov_b32 s28, 0xbb29b964
	s_mov_b32 s29, 0xb8d22de8
	v_pk_mul_f16 v80, v49, s29 op_sel_hi:[0,1]
	s_mov_b32 s29, 0xba62bbf7
	s_mov_b32 s30, 0xbbddb8d2
	v_pk_fma_f16 v64, v6, s28, v79 op_sel_hi:[0,1,1] neg_lo:[1,0,0] neg_hi:[1,0,0]
	v_pk_mul_f16 v81, v50, s30 op_sel_hi:[0,1]
	s_mov_b32 s30, 0x31e1ba62
	s_mov_b32 s31, 0xb461bbdd
	v_pk_add_f16 v64, v16, v64 op_sel_hi:[0,1]
	v_pk_fma_f16 v65, v7, s29, v80 op_sel_hi:[0,1,1] neg_lo:[1,0,0] neg_hi:[1,0,0]
	v_pk_mul_f16 v82, v51, s31 op_sel_hi:[0,1]
	s_mov_b32 s31, 0x3bb2b1e1
	s_mov_b32 s33, 0x39e9bacd
	v_pk_add_f16 v64, v65, v64
	v_pk_fma_f16 v65, v42, s30, v81 op_sel_hi:[0,1,1] neg_lo:[1,0,0] neg_hi:[1,0,0]
	s_mov_b32 s20, 0xb836ba62
	v_pk_mul_f16 v83, v52, s33 op_sel_hi:[0,1]
	s_mov_b32 s33, 0x39643836
	s_mov_b32 s34, 0x3b76b461
	v_pk_add_f16 v64, v65, v64
	v_pk_fma_f16 v65, v43, s31, v82 op_sel_hi:[0,1,1] neg_lo:[1,0,0] neg_hi:[1,0,0]
	v_pk_mul_f16 v68, v6, s20 op_sel_hi:[0,1]
	s_mov_b32 s20, 0x3b293bb2
	v_pk_mul_f16 v84, v53, s34 op_sel_hi:[0,1]
	s_mov_b32 s34, 0xb5c83bb2
	s_mov_b32 s35, 0x2de83722
	v_pk_add_f16 v64, v65, v64
	v_pk_fma_f16 v65, v44, s33, v83 op_sel_hi:[0,1,1] neg_lo:[1,0,0] neg_hi:[1,0,0]
	v_pk_mul_f16 v69, v7, s20 op_sel_hi:[0,1]
	;; [unrolled: 7-line block ×3, first 2 shown]
	s_mov_b32 s20, 0xb4612de8
	v_pk_mul_f16 v86, v55, s36 op_sel_hi:[0,1]
	s_mov_b32 s36, 0xb83635c8
	v_pk_add_f16 v64, v65, v64
	v_pk_fma_f16 v65, v46, s35, v85 op_sel_hi:[0,1,1] neg_lo:[1,0,0] neg_hi:[1,0,0]
	v_pk_mul_f16 v71, v48, s20 op_sel_hi:[0,1]
	s_mov_b32 s20, 0xbbb2bbf7
	s_mov_b32 s21, 0xbacdbbdd
	v_pk_add_f16 v64, v65, v64
	v_pk_fma_f16 v65, v47, s36, v86 op_sel_hi:[0,1,1] neg_lo:[1,0,0] neg_hi:[1,0,0]
	v_pk_mul_f16 v72, v49, s21 op_sel_hi:[0,1]
	s_mov_b32 s21, 0x3836b1e1
	;; [unrolled: 5-line block ×3, first 2 shown]
	s_mov_b32 s23, 0x37223b76
	v_pk_add_f16 v64, v16, v64 op_sel_hi:[0,1]
	v_pk_fma_f16 v66, v7, s21, v72 op_sel_hi:[0,1,1] neg_lo:[1,0,0] neg_hi:[1,0,0]
	v_pk_mul_f16 v74, v51, s23 op_sel_hi:[0,1]
	s_mov_b32 s23, 0xbb2935c8
	s_mov_b32 s24, 0xbbdd3722
	v_pk_add_f16 v64, v66, v64
	v_pk_fma_f16 v66, v42, s22, v73 op_sel_hi:[0,1,1] neg_lo:[1,0,0] neg_hi:[1,0,0]
	v_pk_mul_f16 v75, v52, s24 op_sel_hi:[0,1]
	s_mov_b32 s24, 0xb1e1bb29
	s_mov_b32 s25, 0x2de8bacd
	v_pk_add_f16 v64, v66, v64
	;; [unrolled: 5-line block ×4, first 2 shown]
	v_pk_fma_f16 v66, v45, s25, v76 op_sel_hi:[0,1,1] neg_lo:[1,0,0] neg_hi:[1,0,0]
	v_pk_mul_f16 v78, v55, s27 op_sel_hi:[0,1]
	s_mov_b32 s27, 0xba623964
	v_pk_add_f16 v64, v66, v64
	v_pk_fma_f16 v66, v46, s26, v77 op_sel_hi:[0,1,1] neg_lo:[1,0,0] neg_hi:[1,0,0]
	s_mov_b32 s37, 0xbacdb8d2
	v_pk_add_f16 v64, v66, v64
	v_pk_fma_f16 v66, v47, s27, v78 op_sel_hi:[0,1,1] neg_lo:[1,0,0] neg_hi:[1,0,0]
	;; [unrolled: 3-line block ×3, first 2 shown]
	s_mov_b32 s39, 0x2de83b76
	s_mov_b32 s41, 0x3a62b836
	v_pk_add_f16 v64, v16, v64 op_sel_hi:[0,1]
	v_pk_fma_f16 v67, v49, s38, v69 op_sel_hi:[0,1,1] neg_lo:[0,0,1] neg_hi:[0,0,1]
	s_mov_b32 s40, 0xb8d2bacd
	v_pk_add_f16 v64, v67, v64
	v_pk_fma_f16 v67, v50, s39, v70 op_sel_hi:[0,1,1] neg_lo:[0,0,1] neg_hi:[0,0,1]
	v_pk_mul_f16 v87, v43, s41 op_sel_hi:[0,1]
	s_mov_b32 s42, 0xb5c83bf7
	v_pk_add_f16 v64, v67, v64
	v_pk_fma_f16 v67, v51, s40, v87 op_sel_hi:[0,1,1] neg_lo:[0,0,1] neg_hi:[0,0,1]
	s_mov_b32 s41, 0x3b762de8
	v_pk_mul_f16 v88, v44, s42 op_sel_hi:[0,1]
	s_mov_b32 s43, 0xb1e1b964
	v_pk_add_f16 v64, v67, v64
	v_pk_fma_f16 v67, v52, s41, v88 op_sel_hi:[0,1,1] neg_lo:[0,0,1] neg_hi:[0,0,1]
	s_mov_b32 s42, 0xbbdd39e9
	;; [unrolled: 5-line block ×4, first 2 shown]
	v_pk_mul_f16 v91, v47, s45 op_sel_hi:[0,1]
	v_pk_add_f16 v64, v67, v64
	v_pk_fma_f16 v67, v55, s44, v91 op_sel_hi:[0,1,1] neg_lo:[0,0,1] neg_hi:[0,0,1]
	v_pk_add_f16 v67, v67, v64
	v_mul_f16_e32 v64, 0xb5c8, v6
	v_sub_f16_e32 v56, v56, v64
	v_mul_f16_e32 v64, 0xb964, v7
	v_sub_f16_e32 v57, v57, v64
	v_add_f16_e32 v56, v16, v56
	v_add_f16_e32 v56, v57, v56
	v_mul_f16_e32 v57, 0xbb29, v42
	v_sub_f16_e32 v57, v58, v57
	v_add_f16_e32 v56, v57, v56
	v_mul_f16_e32 v57, 0xbbf7, v43
	v_sub_f16_e32 v57, v59, v57
	;; [unrolled: 3-line block ×4, first 2 shown]
	v_mul_f16_e32 v58, 0xb836, v46
	v_add_f16_e32 v56, v57, v56
	v_mul_f16_e32 v57, 0xb1e1, v47
	v_sub_f16_e32 v58, v62, v58
	v_add_f16_e32 v56, v58, v56
	v_sub_f16_e32 v57, v63, v57
	v_add_f16_e32 v56, v57, v56
	v_add_f16_e32 v57, v16, v1
	;; [unrolled: 1-line block ×16, first 2 shown]
	v_mul_f16_e32 v59, 0xb1e1, v6
	v_add_f16_e32 v57, v57, v41
	v_mul_f16_e32 v58, 0x35c8, v7
	v_pack_b32_f16 v64, v57, v56
	v_mad_u32_u24 v57, v8, 34, 0
	v_fma_f16 v63, v48, s19, -v59
	v_mul_f16_e32 v60, 0xb836, v42
	ds_write_b128 v57, v[64:67]
	v_add_f16_e32 v63, v16, v63
	v_fma_f16 v64, v49, s10, -v58
	v_mul_f16_e32 v56, 0x3964, v43
	v_add_f16_e32 v63, v64, v63
	v_fma_f16 v64, v50, s18, -v60
	v_mul_f16_e32 v61, 0xba62, v44
	;; [unrolled: 3-line block ×3, first 2 shown]
	v_add_f16_e32 v63, v64, v63
	v_fma_f16 v64, v52, s15, -v61
	v_add_f16_e32 v63, v64, v63
	v_fma_f16 v64, v53, s12, -v62
	v_add_f16_e32 v63, v64, v63
	v_mul_f16_e32 v64, 0xbbb2, v46
	v_fma_f16 v65, v54, s14, -v64
	v_add_f16_e32 v63, v65, v63
	v_mul_f16_e32 v65, 0x3bf7, v47
	v_fma_f16 v66, v55, s13, -v65
	v_add_f16_e32 v63, v66, v63
	v_pk_mul_f16 v66, v48, s37 op_sel_hi:[0,1]
	s_mov_b32 s10, 0xffff
	v_mul_f16_e32 v48, 0xbbdd, v48
	v_add_f16_e32 v67, v68, v66
	v_pk_mul_f16 v92, v49, s38 op_sel_hi:[0,1]
	v_bfi_b32 v59, s10, v59, v68
	v_bfi_b32 v48, s10, v48, v66
	v_mul_f16_e32 v49, 0x3b76, v49
	v_add_f16_e32 v67, v16, v67
	v_add_f16_e32 v93, v69, v92
	v_pk_add_f16 v48, v59, v48
	v_bfi_b32 v58, s10, v58, v69
	v_bfi_b32 v49, s10, v49, v92
	v_add_f16_e32 v67, v93, v67
	v_pk_mul_f16 v93, v50, s39 op_sel_hi:[0,1]
	v_pk_add_f16 v49, v58, v49
	v_pk_add_f16 v48, v16, v48 op_sel_hi:[0,1]
	v_mul_f16_e32 v50, 0xbacd, v50
	v_add_f16_e32 v94, v70, v93
	v_pk_add_f16 v48, v49, v48
	v_bfi_b32 v49, s10, v60, v70
	v_bfi_b32 v50, s10, v50, v93
	v_add_f16_e32 v67, v94, v67
	v_pk_mul_f16 v94, v51, s40 op_sel_hi:[0,1]
	v_pk_add_f16 v49, v49, v50
	v_mul_f16_e32 v50, 0x39e9, v51
	v_add_f16_e32 v95, v87, v94
	v_pk_add_f16 v48, v49, v48
	v_bfi_b32 v49, s10, v56, v87
	v_bfi_b32 v50, s10, v50, v94
	v_add_f16_e32 v67, v95, v67
	v_pk_mul_f16 v95, v52, s41 op_sel_hi:[0,1]
	v_mul_f16_e32 v51, 0xb8d2, v52
	v_pk_add_f16 v49, v49, v50
	v_add_f16_e32 v96, v88, v95
	v_pk_add_f16 v48, v49, v48
	v_bfi_b32 v49, s10, v61, v88
	v_bfi_b32 v50, s10, v51, v95
	v_add_f16_e32 v67, v96, v67
	v_pk_mul_f16 v96, v53, s42 op_sel_hi:[0,1]
	v_mul_f16_e32 v52, 0x3722, v53
	v_pk_add_f16 v49, v49, v50
	;; [unrolled: 8-line block ×4, first 2 shown]
	v_bfi_b32 v50, s10, v54, v98
	v_pk_add_f16 v48, v49, v48
	v_bfi_b32 v49, s10, v65, v91
	v_pk_add_f16 v49, v49, v50
	v_pk_fma_f16 v50, v7, s21, v72 op_sel_hi:[0,1,1]
	v_pk_add_f16 v48, v49, v48
	v_pk_fma_f16 v49, v6, s20, v71 op_sel_hi:[0,1,1]
	v_pk_fma_f16 v6, v6, s28, v79 op_sel_hi:[0,1,1]
	v_pk_add_f16 v49, v16, v49 op_sel_hi:[0,1]
	v_pk_add_f16 v6, v16, v6 op_sel_hi:[0,1]
	v_pk_fma_f16 v7, v7, s29, v80 op_sel_hi:[0,1,1]
	v_pk_add_f16 v49, v50, v49
	v_pk_fma_f16 v50, v42, s22, v73 op_sel_hi:[0,1,1]
	v_pk_add_f16 v6, v7, v6
	;; [unrolled: 2-line block ×10, first 2 shown]
	v_pk_fma_f16 v7, v46, s35, v85 op_sel_hi:[0,1,1]
	v_add_f16_e32 v99, v91, v98
	v_pk_add_f16 v49, v50, v49
	v_pk_fma_f16 v50, v47, s27, v78 op_sel_hi:[0,1,1]
	v_pk_add_f16 v6, v7, v6
	v_pk_fma_f16 v7, v47, s36, v86 op_sel_hi:[0,1,1]
	v_add_f16_e32 v67, v99, v67
	v_pk_add_f16 v49, v50, v49
	v_pk_add_f16 v6, v7, v6
	v_alignbit_b32 v43, v67, v48, 16
	v_pack_b32_f16 v42, v63, v48
	v_alignbit_b32 v45, v6, v6, 16
	v_alignbit_b32 v44, v49, v49, 16
	ds_write_b128 v57, v[42:45] offset:16
	ds_write_b16 v57, v0 offset:32
.LBB0_13:
	s_or_b64 exec, exec, s[4:5]
	v_add_f16_e32 v83, v18, v35
	s_mov_b32 s4, 0x39e93b76
	v_sub_f16_e32 v84, v1, v41
	v_pk_mul_f16 v56, v83, s4 op_sel_hi:[0,1]
	s_mov_b32 s4, 0xb964b5c8
	v_add_f16_e32 v81, v19, v33
	v_pk_mul_f16 v58, v84, s4 op_sel_hi:[0,1]
	s_mov_b32 s4, 0x2de839e9
	v_sub_f16_e32 v82, v9, v40
	v_pk_mul_f16 v60, v81, s4 op_sel_hi:[0,1]
	s_mov_b32 s4, 0xbbf7b964
	v_add_f16_e32 v77, v20, v32
	v_pk_mul_f16 v61, v82, s4 op_sel_hi:[0,1]
	;; [unrolled: 6-line block ×4, first 2 shown]
	s_mov_b32 s4, 0xbacdb461
	v_sub_f16_e32 v69, v13, v37
	v_sub_f16_e32 v1, v56, v58
	v_pk_mul_f16 v68, v65, s4 op_sel_hi:[0,1]
	s_mov_b32 s4, 0x3836bbb2
	v_add_f16_e32 v59, v23, v29
	v_add_f16_e32 v1, v11, v1
	v_sub_f16_e32 v6, v60, v61
	v_pk_mul_f16 v70, v69, s4 op_sel_hi:[0,1]
	s_mov_b32 s4, 0xb461b8d2
	v_sub_f16_e32 v62, v14, v36
	v_add_f16_e32 v1, v6, v1
	v_sub_f16_e32 v6, v63, v64
	v_pk_mul_f16 v72, v59, s4 op_sel_hi:[0,1]
	s_mov_b32 s4, 0x3bb2ba62
	v_add_f16_e32 v55, v24, v28
	v_add_f16_e32 v1, v6, v1
	v_sub_f16_e32 v6, v66, v67
	v_pk_mul_f16 v73, v62, s4 op_sel_hi:[0,1]
	s_mov_b32 s4, 0x3722bacd
	v_sub_f16_e32 v57, v15, v34
	v_add_f16_e32 v1, v6, v1
	v_sub_f16_e32 v6, v68, v70
	v_pk_mul_f16 v75, v55, s4 op_sel_hi:[0,1]
	s_mov_b32 s4, 0x3b29b836
	v_add_f16_e32 v1, v6, v1
	v_sub_f16_e32 v6, v72, v73
	v_pk_mul_f16 v76, v57, s4 op_sel_hi:[0,1]
	v_add_f16_e32 v1, v6, v1
	v_sub_f16_e32 v6, v75, v76
	v_add_f16_e32 v1, v6, v1
	v_lshl_add_u32 v6, v8, 1, 0
	v_add_u32_e32 v14, 0x132, v8
	v_sub_f16_e32 v54, v17, v27
	s_waitcnt lgkmcnt(0)
	s_barrier
	ds_read_u16 v37, v6
	ds_read_u16 v44, v6 offset:1836
	ds_read_u16 v45, v6 offset:2040
	;; [unrolled: 1-line block ×7, first 2 shown]
	v_add_u32_e32 v15, 0xcc, v8
	v_lshl_add_u32 v17, v14, 1, 0
	v_add_u32_e32 v12, 0x1fe, v8
	v_add_u32_e32 v13, 0x198, v8
	;; [unrolled: 1-line block ×4, first 2 shown]
	v_lshl_add_u32 v7, v15, 1, 0
	v_lshl_add_u32 v9, v13, 1, 0
	v_lshl_add_u32 v16, v12, 1, 0
	v_lshl_add_u32 v10, v36, 1, 0
	ds_read_u16 v50, v6 offset:2856
	v_lshl_add_u32 v27, v34, 1, 0
	ds_read_u16 v43, v17
	ds_read_u16 v42, v9
	;; [unrolled: 1-line block ×6, first 2 shown]
	ds_read_u16 v52, v6 offset:3060
	v_add_f16_e32 v53, v25, v26
	s_mov_b32 s4, 0x3b76bbdd
	v_pk_mul_f16 v78, v53, s4 op_sel_hi:[0,1]
	s_mov_b32 s4, 0x35c8b1e1
	v_pk_mul_f16 v79, v54, s4 op_sel_hi:[0,1]
	v_sub_f16_e32 v85, v78, v79
	v_add_f16_e32 v1, v85, v1
	s_waitcnt lgkmcnt(0)
	s_barrier
	s_and_saveexec_b64 s[4:5], s[0:1]
	s_cbranch_execz .LBB0_15
; %bb.14:
	v_add_f16_e32 v18, v11, v18
	v_add_f16_e32 v18, v18, v19
	;; [unrolled: 1-line block ×7, first 2 shown]
	s_mov_b32 s1, 0xb461
	v_mul_f16_e32 v20, 0xbbb2, v84
	v_add_f16_e32 v18, v18, v25
	v_fma_f16 v21, v83, s1, v20
	s_mov_b32 s10, 0xbacd
	v_mul_f16_e32 v25, 0x3836, v82
	v_add_f16_e32 v18, v18, v26
	v_add_f16_e32 v21, v11, v21
	v_mul_f16_e32 v22, 0xb1e1, v84
	s_mov_b32 s0, 0xbbdd
	v_fma_f16 v26, v81, s10, v25
	v_fma_f16 v23, v83, s0, v22
	v_add_f16_e32 v21, v26, v21
	v_mul_f16_e32 v26, 0x35c8, v82
	s_movk_i32 s11, 0x3b76
	v_add_f16_e32 v18, v18, v28
	v_add_f16_e32 v23, v11, v23
	v_fma_f16 v28, v81, s11, v26
	v_add_f16_e32 v23, v28, v23
	s_movk_i32 s12, 0x39e9
	v_mul_f16_e32 v28, 0x3964, v80
	v_add_f16_e32 v18, v18, v29
	v_fma_f16 v29, v77, s12, v28
	v_add_f16_e32 v21, v29, v21
	v_mul_f16_e32 v29, 0xb836, v80
	v_add_f16_e32 v18, v18, v30
	v_fma_f16 v30, v77, s10, v29
	v_add_f16_e32 v23, v30, v23
	v_fma_f16 v29, v77, s10, -v29
	s_movk_i32 s10, 0x3722
	v_mul_f16_e32 v30, 0xbb29, v74
	v_add_f16_e32 v18, v18, v31
	v_fma_f16 v31, v71, s10, v30
	v_add_f16_e32 v21, v31, v21
	v_mul_f16_e32 v31, 0x3964, v74
	v_add_f16_e32 v18, v18, v32
	v_fma_f16 v32, v71, s12, v31
	v_add_f16_e32 v23, v32, v23
	v_mul_f16_e32 v32, 0xb1e1, v69
	v_add_f16_e32 v18, v18, v33
	v_fma_f16 v22, v83, s0, -v22
	v_fma_f16 v33, v65, s0, v32
	v_add_f16_e32 v22, v11, v22
	v_fma_f16 v26, v81, s11, -v26
	v_fma_f16 v31, v71, s12, -v31
	v_add_f16_e32 v21, v33, v21
	v_mul_f16_e32 v33, 0xba62, v69
	s_mov_b32 s12, 0xb8d2
	v_add_f16_e32 v18, v18, v35
	v_add_f16_e32 v22, v26, v22
	v_fma_f16 v35, v65, s12, v33
	v_add_f16_e32 v22, v29, v22
	v_add_f16_e32 v23, v35, v23
	s_movk_i32 s0, 0x2de8
	v_mul_f16_e32 v35, 0x3bf7, v62
	v_pack_b32_f16 v93, v65, v65
	v_pack_b32_f16 v96, v62, v62
	v_add_f16_e32 v22, v31, v22
	v_mul_f16_e32 v31, 0xbbdd, v65
	v_fma_f16 v33, v65, s12, -v33
	v_fma_f16 v65, v59, s0, v35
	v_mul_f16_e32 v62, 0x3b29, v62
	v_pack_b32_f16 v95, v59, v59
	v_add_f16_e32 v22, v33, v22
	v_mul_f16_e32 v33, 0x2de8, v59
	v_add_f16_e32 v21, v65, v21
	v_fma_f16 v65, v59, s10, v62
	v_fma_f16 v59, v59, s10, -v62
	v_mul_f16_e32 v62, 0xb5c8, v57
	v_add_f16_e32 v23, v65, v23
	v_fma_f16 v65, v55, s11, v62
	v_add_f16_e32 v65, v65, v21
	v_mul_f16_e32 v21, 0xbbb2, v57
	v_pack_b32_f16 v98, v57, v57
	v_add_f16_e32 v22, v59, v22
	v_fma_f16 v57, v55, s1, v21
	v_fma_f16 v21, v55, s1, -v21
	v_add_f16_e32 v22, v21, v22
	v_pk_add_f16 v21, v56, v58
	v_pack_b32_f16 v97, v55, v55
	v_mul_f16_e32 v59, 0x3b76, v55
	v_pk_add_f16 v21, v11, v21 op_sel_hi:[0,1]
	v_pk_add_f16 v55, v60, v61
	v_pack_b32_f16 v86, v84, v84
	v_pk_add_f16 v21, v55, v21
	v_pk_add_f16 v55, v63, v64
	s_mov_b32 s10, 0xbbf7bb29
	v_pk_add_f16 v21, v55, v21
	v_pk_add_f16 v55, v66, v67
	v_pack_b32_f16 v85, v83, v83
	v_pk_add_f16 v21, v55, v21
	v_pk_add_f16 v55, v68, v70
	v_pack_b32_f16 v88, v82, v82
	v_pk_add_f16 v21, v55, v21
	v_pk_add_f16 v55, v72, v73
	v_add_f16_e32 v23, v57, v23
	v_pk_add_f16 v21, v55, v21
	v_pk_add_f16 v55, v75, v76
	s_mov_b32 s1, 0x2de83722
	v_pk_add_f16 v21, v55, v21
	v_pk_add_f16 v55, v78, v79
	v_pk_mul_f16 v57, v86, s10
	s_mov_b32 s10, 0xb1e1ba62
	v_pack_b32_f16 v87, v81, v81
	v_pack_b32_f16 v90, v80, v80
	v_pk_add_f16 v55, v55, v21
	v_pk_mul_f16 v56, v85, s1
	v_pk_fma_f16 v21, v85, s1, v57
	s_mov_b32 s1, 0xbbddb8d2
	v_pk_mul_f16 v60, v88, s10
	s_mov_b32 s10, 0x3bb231e1
	v_pack_b32_f16 v89, v77, v77
	v_pack_b32_f16 v92, v74, v74
	v_pk_add_f16 v21, v11, v21 op_sel_hi:[0,1]
	v_pk_mul_f16 v58, v87, s1
	v_pk_fma_f16 v61, v87, s1, v60
	s_mov_b32 s1, 0xb461bbdd
	v_pk_mul_f16 v63, v90, s10
	s_mov_b32 s10, 0x35c83bb2
	v_pack_b32_f16 v91, v71, v71
	v_pack_b32_f16 v94, v69, v69
	v_pk_add_f16 v21, v61, v21
	v_pk_mul_f16 v61, v89, s1
	v_pk_fma_f16 v64, v89, s1, v63
	s_mov_b32 s1, 0x3b76b461
	v_pk_mul_f16 v66, v92, s10
	s_mov_b32 s10, 0xbb293964
	v_pk_add_f16 v21, v64, v21
	v_pk_mul_f16 v64, v91, s1
	v_pk_fma_f16 v67, v91, s1, v66
	s_mov_b32 s1, 0x372239e9
	v_pk_mul_f16 v68, v94, s10
	s_mov_b32 s10, 0xb836b5c8
	;; [unrolled: 6-line block ×3, first 2 shown]
	v_pack_b32_f16 v100, v54, v54
	v_mul_f16_e32 v29, 0x3722, v71
	v_pk_add_f16 v21, v69, v21
	v_pk_mul_f16 v69, v95, s1
	v_pk_fma_f16 v71, v95, s1, v70
	s_mov_b32 s1, 0xb8d22de8
	v_pk_mul_f16 v72, v98, s10
	s_mov_b32 s10, 0x3964b836
	v_pack_b32_f16 v99, v53, v53
	v_pk_add_f16 v21, v71, v21
	v_pk_mul_f16 v71, v97, s1
	v_pk_fma_f16 v73, v97, s1, v72
	s_mov_b32 s1, 0x39e9bacd
	v_pk_mul_f16 v75, v100, s10
	s_mov_b32 s10, 0x39643b29
	v_pk_add_f16 v73, v73, v21
	v_pk_mul_f16 v74, v99, s1
	v_pk_fma_f16 v76, v99, s1, v75
	s_mov_b32 s1, 0x39e93722
	v_pk_mul_f16 v21, v86, s10
	s_mov_b32 s10, 0x3bf73a62
	v_mul_f16_e32 v26, 0x39e9, v77
	v_pk_fma_f16 v21, v85, s1, v21
	s_mov_b32 s1, 0x2de8b8d2
	v_pk_mul_f16 v77, v88, s10
	v_pk_add_f16 v21, v11, v21 op_sel_hi:[0,1]
	v_pk_fma_f16 v77, v87, s1, v77
	s_mov_b32 s10, 0x3a62b1e1
	v_pk_add_f16 v21, v77, v21
	s_mov_b32 s1, 0xb8d2bbdd
	v_pk_mul_f16 v77, v90, s10
	s_mov_b32 s10, 0x31e1bbb2
	v_pk_fma_f16 v77, v89, s1, v77
	s_mov_b32 s1, 0xbbddb461
	v_pk_add_f16 v21, v77, v21
	v_pk_mul_f16 v77, v92, s10
	s_mov_b32 s10, 0xb836b964
	v_pk_fma_f16 v77, v91, s1, v77
	s_mov_b32 s1, 0xbacd39e9
	v_pk_add_f16 v21, v77, v21
	;; [unrolled: 5-line block ×5, first 2 shown]
	v_pk_mul_f16 v77, v100, s10
	v_mul_f16_e32 v19, 0xb461, v83
	v_pk_fma_f16 v77, v99, s1, v77
	s_mov_b32 s1, 0xffff
	v_mul_f16_e32 v24, 0xbacd, v81
	v_bfi_b32 v19, s1, v19, v56
	v_bfi_b32 v20, s1, v20, v57
	v_pk_add_f16 v19, v19, v20 neg_lo:[0,1] neg_hi:[0,1]
	v_bfi_b32 v20, s1, v24, v58
	v_bfi_b32 v24, s1, v25, v60
	v_pk_add_f16 v19, v11, v19 op_sel_hi:[0,1]
	v_pk_add_f16 v20, v20, v24 neg_lo:[0,1] neg_hi:[0,1]
	v_bfi_b32 v24, s1, v28, v63
	v_pk_add_f16 v19, v20, v19
	v_bfi_b32 v20, s1, v26, v61
	v_pk_add_f16 v20, v20, v24 neg_lo:[0,1] neg_hi:[0,1]
	v_bfi_b32 v24, s1, v30, v66
	v_pk_add_f16 v19, v20, v19
	v_bfi_b32 v20, s1, v29, v64
	;; [unrolled: 4-line block ×5, first 2 shown]
	v_pk_add_f16 v21, v77, v21
	v_pk_add_f16 v73, v76, v73
	v_mul_f16_e32 v76, 0xb8d2, v53
	v_mul_f16_e32 v77, 0xba62, v54
	v_pk_add_f16 v20, v20, v24 neg_lo:[0,1] neg_hi:[0,1]
	v_bfi_b32 v24, s1, v77, v75
	v_pk_add_f16 v19, v20, v19
	v_bfi_b32 v20, s1, v76, v74
	v_pk_add_f16 v20, v20, v24 neg_lo:[0,1] neg_hi:[0,1]
	s_mov_b32 s10, 0xb836ba62
	v_pk_add_f16 v20, v20, v19
	s_mov_b32 s1, 0xbacdb8d2
	v_pk_mul_f16 v19, v86, s10
	s_mov_b32 s11, 0x3b293bb2
	v_fma_f16 v78, v53, s12, v77
	v_pk_fma_f16 v24, v85, s1, v19
	s_mov_b32 s10, 0x3722b461
	v_pk_mul_f16 v26, v88, s11
	s_mov_b32 s12, 0xbbf7b5c8
	v_pk_fma_f16 v19, v85, s1, v19 neg_lo:[0,0,1] neg_hi:[0,0,1]
	v_pk_add_f16 v24, v11, v24 op_sel_hi:[0,1]
	s_mov_b32 s11, 0x2de83b76
	v_pk_mul_f16 v28, v90, s12
	s_mov_b32 s13, 0x3a62b836
	v_pk_add_f16 v11, v11, v19 op_sel_hi:[0,1]
	v_pk_fma_f16 v19, v87, s10, v26 neg_lo:[0,0,1] neg_hi:[0,0,1]
	v_pk_fma_f16 v25, v87, s10, v26
	s_mov_b32 s12, 0xb8d2bacd
	v_pk_mul_f16 v29, v92, s13
	s_mov_b32 s14, 0xb5c83bf7
	v_pk_add_f16 v11, v19, v11
	v_pk_fma_f16 v19, v89, s11, v28 neg_lo:[0,0,1] neg_hi:[0,0,1]
	v_pk_add_f16 v24, v25, v24
	v_pk_fma_f16 v25, v89, s11, v28
	s_mov_b32 s13, 0x3b762de8
	v_pk_mul_f16 v30, v94, s14
	s_mov_b32 s15, 0xb1e1b964
	v_pk_add_f16 v11, v19, v11
	v_pk_fma_f16 v19, v91, s12, v29 neg_lo:[0,0,1] neg_hi:[0,0,1]
	v_pk_add_f16 v24, v25, v24
	;; [unrolled: 7-line block ×4, first 2 shown]
	v_pk_fma_f16 v25, v95, s14, v31
	s_mov_b32 s18, 0xb4613722
	v_pk_mul_f16 v33, v100, s19
	v_pk_add_f16 v11, v19, v11
	v_pk_fma_f16 v19, v97, s15, v32 neg_lo:[0,0,1] neg_hi:[0,0,1]
	v_pk_add_f16 v24, v25, v24
	v_pk_fma_f16 v25, v97, s15, v32
	v_pk_add_f16 v11, v19, v11
	v_pk_fma_f16 v19, v99, s18, v33 neg_lo:[0,0,1] neg_hi:[0,0,1]
	v_pk_add_f16 v24, v25, v24
	v_pk_fma_f16 v25, v99, s18, v33
	v_pk_add_f16 v11, v19, v11
	v_mul_f16_e32 v19, 0x3bf7, v54
	v_pk_add_f16 v25, v25, v24
	v_fma_f16 v24, v53, s0, v19
	v_fma_f16 v19, v53, s0, -v19
	v_add_f16_e32 v65, v78, v65
	v_add_f16_e32 v26, v24, v23
	;; [unrolled: 1-line block ×3, first 2 shown]
	v_lshl_add_u32 v28, v8, 5, v6
	v_alignbit_b32 v24, v65, v73, 16
	v_alignbit_b32 v23, v73, v55, 16
	v_pack_b32_f16 v22, v18, v55
	v_pack_b32_f16 v18, v26, v19
	v_alignbit_b32 v19, v11, v11, 16
	ds_write_b128 v28, v[22:25]
	ds_write_b128 v28, v[18:21] offset:16
	ds_write_b16 v28, v1 offset:32
.LBB0_15:
	s_or_b64 exec, exec, s[4:5]
	v_add_u32_e32 v11, 0x66, v8
	s_movk_i32 s0, 0xf1
	v_mul_lo_u16_sdwa v18, v8, s0 dst_sel:DWORD dst_unused:UNUSED_PAD src0_sel:BYTE_0 src1_sel:DWORD
	v_mul_lo_u16_sdwa v23, v11, s0 dst_sel:DWORD dst_unused:UNUSED_PAD src0_sel:BYTE_0 src1_sel:DWORD
	s_mov_b32 s0, 0xf0f1
	v_lshrrev_b16_e32 v19, 12, v18
	v_lshrrev_b16_e32 v24, 12, v23
	v_mul_u32_u24_sdwa v30, v15, s0 dst_sel:DWORD dst_unused:UNUSED_PAD src0_sel:WORD_0 src1_sel:DWORD
	v_mul_u32_u24_sdwa v33, v14, s0 dst_sel:DWORD dst_unused:UNUSED_PAD src0_sel:WORD_0 src1_sel:DWORD
	v_mul_u32_u24_sdwa v54, v13, s0 dst_sel:DWORD dst_unused:UNUSED_PAD src0_sel:WORD_0 src1_sel:DWORD
	v_mul_lo_u16_e32 v20, 17, v19
	v_mul_lo_u16_e32 v25, 17, v24
	v_lshrrev_b32_e32 v28, 20, v30
	v_lshrrev_b32_e32 v32, 20, v33
	;; [unrolled: 1-line block ×3, first 2 shown]
	v_sub_u16_e32 v20, v8, v20
	v_mov_b32_e32 v21, 2
	v_sub_u16_e32 v25, v11, v25
	v_mul_lo_u16_e32 v29, 17, v28
	v_mul_lo_u16_e32 v35, 17, v32
	;; [unrolled: 1-line block ×3, first 2 shown]
	v_mul_u32_u24_sdwa v58, v12, s0 dst_sel:DWORD dst_unused:UNUSED_PAD src0_sel:WORD_0 src1_sel:DWORD
	v_lshlrev_b32_sdwa v22, v21, v20 dst_sel:DWORD dst_unused:UNUSED_PAD src0_sel:DWORD src1_sel:BYTE_0
	v_lshlrev_b32_sdwa v26, v21, v25 dst_sel:DWORD dst_unused:UNUSED_PAD src0_sel:DWORD src1_sel:BYTE_0
	v_sub_u16_e32 v29, v15, v29
	v_sub_u16_e32 v35, v14, v35
	;; [unrolled: 1-line block ×3, first 2 shown]
	v_lshrrev_b32_e32 v59, 20, v58
	s_load_dwordx2 s[4:5], s[2:3], 0x0
	s_waitcnt lgkmcnt(0)
	s_barrier
	v_lshlrev_b32_e32 v31, 2, v29
	global_load_dword v22, v22, s[8:9]
	v_lshlrev_b32_e32 v53, 2, v35
	global_load_dword v26, v26, s[8:9]
	;; [unrolled: 2-line block ×3, first 2 shown]
	v_mul_lo_u16_e32 v60, 17, v59
	global_load_dword v53, v53, s[8:9]
	v_mul_u32_u24_sdwa v62, v36, s0 dst_sel:DWORD dst_unused:UNUSED_PAD src0_sel:WORD_0 src1_sel:DWORD
	global_load_dword v57, v57, s[8:9]
	v_sub_u16_e32 v60, v12, v60
	v_lshrrev_b32_e32 v63, 20, v62
	v_lshlrev_b32_e32 v61, 2, v60
	global_load_dword v61, v61, s[8:9]
	v_mul_lo_u16_e32 v64, 17, v63
	v_sub_u16_e32 v64, v36, v64
	v_lshlrev_b32_e32 v65, 2, v64
	global_load_dword v65, v65, s[8:9]
	v_mul_u32_u24_sdwa v66, v34, s0 dst_sel:DWORD dst_unused:UNUSED_PAD src0_sel:WORD_0 src1_sel:DWORD
	v_lshrrev_b32_e32 v67, 20, v66
	v_mul_lo_u16_e32 v68, 17, v67
	v_sub_u16_e32 v68, v34, v68
	v_lshlrev_b32_e32 v69, 2, v68
	global_load_dword v69, v69, s[8:9]
	ds_read_u16 v70, v6
	ds_read_u16 v71, v6 offset:1836
	ds_read_u16 v72, v6 offset:2040
	;; [unrolled: 1-line block ×8, first 2 shown]
	ds_read_u16 v79, v17
	ds_read_u16 v80, v9
	;; [unrolled: 1-line block ×6, first 2 shown]
	ds_read_u16 v85, v6 offset:3060
	v_mul_u32_u24_e32 v19, 0x44, v19
	s_mov_b32 s0, 0x5040100
	s_movk_i32 s1, 0x44
	s_waitcnt lgkmcnt(0)
	s_barrier
	v_lshrrev_b16_e32 v23, 13, v23
	v_lshrrev_b32_e32 v33, 21, v33
	v_lshrrev_b32_e32 v30, 21, v30
	s_waitcnt vmcnt(7)
	v_mul_f16_sdwa v86, v76, v22 dst_sel:DWORD dst_unused:UNUSED_PAD src0_sel:DWORD src1_sel:WORD_1
	v_mul_f16_sdwa v87, v51, v22 dst_sel:DWORD dst_unused:UNUSED_PAD src0_sel:DWORD src1_sel:WORD_1
	s_waitcnt vmcnt(6)
	v_mul_f16_sdwa v88, v71, v26 dst_sel:DWORD dst_unused:UNUSED_PAD src0_sel:DWORD src1_sel:WORD_1
	v_mul_f16_sdwa v89, v44, v26 dst_sel:DWORD dst_unused:UNUSED_PAD src0_sel:DWORD src1_sel:WORD_1
	v_fma_f16 v44, v44, v26, -v88
	v_fma_f16 v26, v71, v26, v89
	v_fma_f16 v51, v51, v22, -v86
	v_fma_f16 v22, v76, v22, v87
	s_waitcnt vmcnt(3)
	v_mul_f16_sdwa v71, v74, v57 dst_sel:DWORD dst_unused:UNUSED_PAD src0_sel:DWORD src1_sel:WORD_1
	v_fma_f16 v71, v48, v57, -v71
	v_mul_f16_sdwa v48, v48, v57 dst_sel:DWORD dst_unused:UNUSED_PAD src0_sel:DWORD src1_sel:WORD_1
	v_fma_f16 v48, v74, v57, v48
	s_waitcnt vmcnt(2)
	v_mul_f16_sdwa v57, v75, v61 dst_sel:DWORD dst_unused:UNUSED_PAD src0_sel:DWORD src1_sel:WORD_1
	v_fma_f16 v57, v47, v61, -v57
	v_mul_f16_sdwa v47, v47, v61 dst_sel:DWORD dst_unused:UNUSED_PAD src0_sel:DWORD src1_sel:WORD_1
	;; [unrolled: 5-line block ×3, first 2 shown]
	v_fma_f16 v50, v78, v65, v50
	v_mov_b32_e32 v78, 1
	v_lshlrev_b32_sdwa v20, v78, v20 dst_sel:DWORD dst_unused:UNUSED_PAD src0_sel:DWORD src1_sel:BYTE_0
	s_waitcnt vmcnt(0)
	v_mul_f16_sdwa v65, v85, v69 dst_sel:DWORD dst_unused:UNUSED_PAD src0_sel:DWORD src1_sel:WORD_1
	v_add3_u32 v20, 0, v19, v20
	v_mul_u32_u24_e32 v19, 0x44, v24
	v_lshlrev_b32_sdwa v24, v78, v25 dst_sel:DWORD dst_unused:UNUSED_PAD src0_sel:DWORD src1_sel:BYTE_0
	v_fma_f16 v65, v52, v69, -v65
	v_mul_f16_sdwa v52, v52, v69 dst_sel:DWORD dst_unused:UNUSED_PAD src0_sel:DWORD src1_sel:WORD_1
	v_sub_f16_e32 v51, v37, v51
	v_sub_f16_e32 v22, v70, v22
	;; [unrolled: 1-line block ×3, first 2 shown]
	v_add3_u32 v24, 0, v19, v24
	v_perm_b32 v19, v32, v28, s0
	v_fma_f16 v52, v85, v69, v52
	v_fma_f16 v37, v37, 2.0, -v51
	v_fma_f16 v69, v70, 2.0, -v22
	v_sub_f16_e32 v70, v77, v26
	v_fma_f16 v26, v40, 2.0, -v44
	v_pk_mul_lo_u16 v19, v19, s1 op_sel_hi:[1,0]
	ds_write_b16 v20, v37
	ds_write_b16 v20, v51 offset:34
	ds_write_b16 v24, v26
	ds_write_b16 v24, v44 offset:34
	v_and_b32_e32 v25, 0xfffc, v19
	v_lshlrev_b32_e32 v26, 1, v29
	v_mul_f16_sdwa v90, v72, v31 dst_sel:DWORD dst_unused:UNUSED_PAD src0_sel:DWORD src1_sel:WORD_1
	v_mul_f16_sdwa v92, v73, v53 dst_sel:DWORD dst_unused:UNUSED_PAD src0_sel:DWORD src1_sel:WORD_1
	v_add3_u32 v37, 0, v25, v26
	v_lshrrev_b32_e32 v19, 16, v19
	v_lshlrev_b32_e32 v25, 1, v35
	v_mul_f16_sdwa v91, v45, v31 dst_sel:DWORD dst_unused:UNUSED_PAD src0_sel:DWORD src1_sel:WORD_1
	v_mul_f16_sdwa v93, v46, v53 dst_sel:DWORD dst_unused:UNUSED_PAD src0_sel:DWORD src1_sel:WORD_1
	v_fma_f16 v45, v45, v31, -v90
	v_fma_f16 v46, v46, v53, -v92
	v_add3_u32 v44, 0, v19, v25
	v_perm_b32 v19, v59, v55, s0
	v_sub_f16_e32 v45, v49, v45
	v_sub_f16_e32 v46, v43, v46
	v_pk_mul_lo_u16 v19, v19, s1 op_sel_hi:[1,0]
	v_fma_f16 v49, v49, 2.0, -v45
	v_fma_f16 v43, v43, 2.0, -v46
	v_sub_f16_e32 v71, v42, v71
	v_and_b32_e32 v25, 0xfffc, v19
	v_lshlrev_b32_e32 v26, 1, v56
	v_fma_f16 v42, v42, 2.0, -v71
	ds_write_b16 v37, v49
	ds_write_b16 v37, v45 offset:34
	ds_write_b16 v44, v43
	ds_write_b16 v44, v46 offset:34
	v_add3_u32 v43, 0, v25, v26
	v_lshrrev_b32_e32 v19, 16, v19
	v_lshlrev_b32_e32 v25, 1, v60
	ds_write_b16 v43, v42
	ds_write_b16 v43, v71 offset:34
	v_add3_u32 v42, 0, v19, v25
	v_perm_b32 v19, v67, v63, s0
	v_sub_f16_e32 v57, v41, v57
	v_pk_mul_lo_u16 v19, v19, s1 op_sel_hi:[1,0]
	v_fma_f16 v41, v41, 2.0, -v57
	v_and_b32_e32 v25, 0xfffc, v19
	v_lshlrev_b32_e32 v26, 1, v64
	v_fma_f16 v31, v72, v31, v91
	v_fma_f16 v53, v73, v53, v93
	v_sub_f16_e32 v61, v39, v61
	v_sub_f16_e32 v65, v38, v65
	ds_write_b16 v42, v41
	ds_write_b16 v42, v57 offset:34
	v_add3_u32 v41, 0, v25, v26
	v_lshrrev_b32_e32 v19, 16, v19
	v_lshlrev_b32_e32 v25, 1, v68
	v_sub_f16_e32 v31, v84, v31
	v_sub_f16_e32 v53, v79, v53
	;; [unrolled: 1-line block ×5, first 2 shown]
	v_fma_f16 v39, v39, 2.0, -v61
	v_sub_f16_e32 v52, v83, v52
	v_fma_f16 v38, v38, 2.0, -v65
	v_add3_u32 v45, 0, v19, v25
	v_fma_f16 v40, v77, 2.0, -v70
	v_fma_f16 v72, v84, 2.0, -v31
	;; [unrolled: 1-line block ×7, first 2 shown]
	ds_write_b16 v41, v39
	ds_write_b16 v41, v61 offset:34
	ds_write_b16 v45, v38
	ds_write_b16 v45, v65 offset:34
	s_waitcnt lgkmcnt(0)
	s_barrier
	ds_read_u16 v38, v6
	ds_read_u16 v19, v6 offset:1836
	ds_read_u16 v25, v6 offset:2040
	;; [unrolled: 1-line block ×8, first 2 shown]
	ds_read_u16 v68, v17
	ds_read_u16 v71, v9
	;; [unrolled: 1-line block ×6, first 2 shown]
	ds_read_u16 v35, v6 offset:3060
	s_waitcnt lgkmcnt(0)
	s_barrier
	ds_write_b16 v20, v69
	ds_write_b16 v20, v22 offset:34
	ds_write_b16 v24, v40
	ds_write_b16 v24, v70 offset:34
	;; [unrolled: 2-line block ×8, first 2 shown]
	v_lshrrev_b16_e32 v20, 13, v18
	v_mul_lo_u16_e32 v18, 34, v20
	v_mul_lo_u16_e32 v24, 34, v23
	v_sub_u16_e32 v22, v8, v18
	v_sub_u16_e32 v24, v11, v24
	v_mul_lo_u16_e32 v40, 34, v33
	v_lshrrev_b32_e32 v72, 21, v58
	v_lshlrev_b32_sdwa v18, v21, v22 dst_sel:DWORD dst_unused:UNUSED_PAD src0_sel:DWORD src1_sel:BYTE_0
	v_lshlrev_b32_sdwa v21, v21, v24 dst_sel:DWORD dst_unused:UNUSED_PAD src0_sel:DWORD src1_sel:BYTE_0
	v_sub_u16_e32 v40, v14, v40
	v_mul_lo_u16_e32 v44, 34, v72
	s_waitcnt lgkmcnt(0)
	s_barrier
	v_lshlrev_b32_e32 v41, 2, v40
	v_sub_u16_e32 v73, v12, v44
	global_load_dword v44, v18, s[8:9] offset:68
	global_load_dword v45, v21, s[8:9] offset:68
	;; [unrolled: 1-line block ×3, first 2 shown]
	v_lshrrev_b32_e32 v42, 21, v54
	v_mul_lo_u16_e32 v43, 34, v42
	v_sub_u16_e32 v43, v13, v43
	v_lshlrev_b32_e32 v48, 2, v43
	v_lshrrev_b32_e32 v74, 21, v62
	global_load_dword v51, v48, s[8:9] offset:68
	v_mul_lo_u16_e32 v31, 34, v30
	v_mul_lo_u16_e32 v18, 34, v74
	v_sub_u16_e32 v31, v15, v31
	v_sub_u16_e32 v21, v36, v18
	v_lshlrev_b32_e32 v37, 2, v31
	v_lshlrev_b32_e32 v49, 2, v73
	v_lshlrev_b32_e32 v18, 2, v21
	v_lshrrev_b32_e32 v36, 21, v66
	global_load_dword v46, v37, s[8:9] offset:68
	global_load_dword v52, v49, s[8:9] offset:68
	global_load_dword v53, v18, s[8:9] offset:68
	v_mul_lo_u16_e32 v37, 34, v36
	v_sub_u16_e32 v34, v34, v37
	v_lshlrev_b32_e32 v18, 2, v34
	global_load_dword v54, v18, s[8:9] offset:68
	ds_read_u16 v48, v6
	ds_read_u16 v64, v6 offset:1836
	ds_read_u16 v63, v6 offset:2040
	;; [unrolled: 1-line block ×8, first 2 shown]
	ds_read_u16 v56, v17
	ds_read_u16 v55, v9
	;; [unrolled: 1-line block ×6, first 2 shown]
	ds_read_u16 v65, v6 offset:3060
	v_mul_u32_u24_e32 v20, 0x88, v20
	v_lshlrev_b32_sdwa v22, v78, v22 dst_sel:DWORD dst_unused:UNUSED_PAD src0_sel:DWORD src1_sel:BYTE_0
	s_movk_i32 s1, 0x88
	v_lshlrev_b32_e32 v21, 1, v21
	s_waitcnt lgkmcnt(0)
	s_barrier
	s_waitcnt vmcnt(7)
	v_mul_f16_sdwa v18, v66, v44 dst_sel:DWORD dst_unused:UNUSED_PAD src0_sel:DWORD src1_sel:WORD_1
	s_waitcnt vmcnt(6)
	v_mul_f16_sdwa v37, v64, v45 dst_sel:DWORD dst_unused:UNUSED_PAD src0_sel:DWORD src1_sel:WORD_1
	v_fma_f16 v37, v19, v45, -v37
	s_waitcnt vmcnt(5)
	v_mul_f16_sdwa v69, v62, v47 dst_sel:DWORD dst_unused:UNUSED_PAD src0_sel:DWORD src1_sel:WORD_1
	v_fma_f16 v69, v26, v47, -v69
	v_sub_f16_e32 v37, v67, v37
	v_fma_f16 v84, v67, 2.0, -v37
	v_sub_f16_e32 v85, v68, v69
	v_add3_u32 v67, 0, v20, v22
	v_mul_u32_u24_e32 v20, 0x88, v23
	v_lshlrev_b32_sdwa v22, v78, v24 dst_sel:DWORD dst_unused:UNUSED_PAD src0_sel:DWORD src1_sel:BYTE_0
	v_fma_f16 v86, v68, 2.0, -v85
	v_add3_u32 v68, 0, v20, v22
	v_perm_b32 v20, v33, v30, s0
	v_pk_mul_lo_u16 v20, v20, s1 op_sel_hi:[1,0]
	s_waitcnt vmcnt(4)
	v_mul_f16_sdwa v70, v60, v51 dst_sel:DWORD dst_unused:UNUSED_PAD src0_sel:DWORD src1_sel:WORD_1
	v_and_b32_e32 v22, 0xfff8, v20
	v_lshlrev_b32_e32 v23, 1, v31
	v_fma_f16 v70, v28, v51, -v70
	v_add3_u32 v69, 0, v22, v23
	v_lshrrev_b32_e32 v20, 16, v20
	v_lshlrev_b32_e32 v22, 1, v40
	v_sub_f16_e32 v87, v71, v70
	v_add3_u32 v70, 0, v20, v22
	v_perm_b32 v20, v72, v42, s0
	v_pk_mul_lo_u16 v20, v20, s1 op_sel_hi:[1,0]
	v_lshlrev_b32_e32 v23, 1, v43
	v_and_b32_e32 v22, 0xfff8, v20
	v_fma_f16 v88, v71, 2.0, -v87
	v_add3_u32 v71, 0, v22, v23
	v_lshrrev_b32_e32 v20, 16, v20
	v_lshlrev_b32_e32 v22, 1, v73
	v_add3_u32 v72, 0, v20, v22
	v_perm_b32 v20, v36, v74, s0
	s_waitcnt vmcnt(3)
	v_mul_f16_sdwa v41, v63, v46 dst_sel:DWORD dst_unused:UNUSED_PAD src0_sel:DWORD src1_sel:WORD_1
	s_waitcnt vmcnt(2)
	v_mul_f16_sdwa v75, v59, v52 dst_sel:DWORD dst_unused:UNUSED_PAD src0_sel:DWORD src1_sel:WORD_1
	;; [unrolled: 2-line block ×4, first 2 shown]
	v_pk_mul_lo_u16 v20, v20, s1 op_sel_hi:[1,0]
	v_fma_f16 v18, v39, v44, -v18
	v_fma_f16 v41, v25, v46, -v41
	;; [unrolled: 1-line block ×5, first 2 shown]
	v_and_b32_e32 v22, 0xfff8, v20
	v_sub_f16_e32 v83, v38, v18
	v_sub_f16_e32 v41, v82, v41
	;; [unrolled: 1-line block ×5, first 2 shown]
	v_add3_u32 v73, 0, v22, v21
	v_lshrrev_b32_e32 v20, 16, v20
	v_lshlrev_b32_e32 v21, 1, v34
	v_fma_f16 v38, v38, 2.0, -v83
	v_fma_f16 v82, v82, 2.0, -v41
	;; [unrolled: 1-line block ×5, first 2 shown]
	v_add3_u32 v74, 0, v20, v21
	ds_write_b16 v67, v38
	ds_write_b16 v67, v83 offset:68
	ds_write_b16 v68, v84
	ds_write_b16 v68, v37 offset:68
	;; [unrolled: 2-line block ×8, first 2 shown]
	s_waitcnt lgkmcnt(0)
	s_barrier
	ds_read_u16 v22, v6
	ds_read_u16 v34, v6 offset:1292
	ds_read_u16 v33, v6 offset:1496
	;; [unrolled: 1-line block ×10, first 2 shown]
	ds_read_u16 v21, v17
	ds_read_u16 v20, v9
	;; [unrolled: 1-line block ×3, first 2 shown]
	ds_read_u16 v37, v6 offset:2992
	v_cmp_gt_u32_e64 s[0:1], 34, v8
                                        ; implicit-def: $vgpr38
	s_and_saveexec_b64 s[2:3], s[0:1]
	s_cbranch_execz .LBB0_17
; %bb.16:
	ds_read_u16 v0, v6 offset:2108
	ds_read_u16 v18, v16
	ds_read_u16 v38, v6 offset:3196
.LBB0_17:
	s_or_b64 exec, exec, s[2:3]
	v_mul_f16_sdwa v39, v39, v44 dst_sel:DWORD dst_unused:UNUSED_PAD src0_sel:DWORD src1_sel:WORD_1
	v_mul_f16_sdwa v19, v19, v45 dst_sel:DWORD dst_unused:UNUSED_PAD src0_sel:DWORD src1_sel:WORD_1
	;; [unrolled: 1-line block ×7, first 2 shown]
	v_fma_f16 v39, v66, v44, v39
	v_fma_f16 v19, v64, v45, v19
	;; [unrolled: 1-line block ×4, first 2 shown]
	v_mul_f16_sdwa v28, v28, v51 dst_sel:DWORD dst_unused:UNUSED_PAD src0_sel:DWORD src1_sel:WORD_1
	v_fma_f16 v29, v59, v52, v29
	v_fma_f16 v32, v61, v53, v32
	v_fma_f16 v35, v65, v54, v35
	v_fma_f16 v28, v60, v51, v28
	v_sub_f16_e32 v39, v48, v39
	v_sub_f16_e32 v45, v57, v19
	;; [unrolled: 1-line block ×7, first 2 shown]
	v_fma_f16 v44, v48, 2.0, -v39
	v_fma_f16 v46, v57, 2.0, -v45
	;; [unrolled: 1-line block ×4, first 2 shown]
	v_sub_f16_e32 v28, v55, v28
	v_fma_f16 v50, v50, 2.0, -v29
	v_fma_f16 v49, v49, 2.0, -v32
	;; [unrolled: 1-line block ×4, first 2 shown]
	s_waitcnt lgkmcnt(0)
	s_barrier
	ds_write_b16 v67, v44
	ds_write_b16 v67, v39 offset:68
	ds_write_b16 v68, v46
	ds_write_b16 v68, v45 offset:68
	;; [unrolled: 2-line block ×8, first 2 shown]
	s_waitcnt lgkmcnt(0)
	s_barrier
	ds_read_u16 v26, v6
	ds_read_u16 v39, v6 offset:1292
	ds_read_u16 v35, v6 offset:1496
	;; [unrolled: 1-line block ×10, first 2 shown]
	ds_read_u16 v25, v17
	ds_read_u16 v17, v9
	;; [unrolled: 1-line block ×3, first 2 shown]
	ds_read_u16 v46, v6 offset:2992
                                        ; implicit-def: $vgpr44
	s_and_saveexec_b64 s[2:3], s[0:1]
	s_cbranch_execz .LBB0_19
; %bb.18:
	ds_read_u16 v1, v6 offset:2108
	ds_read_u16 v19, v16
	ds_read_u16 v44, v6 offset:3196
.LBB0_19:
	s_or_b64 exec, exec, s[2:3]
	s_movk_i32 s2, 0x44
	v_add_u32_e32 v16, 0xffffffbc, v8
	v_cmp_gt_u32_e64 s[2:3], s2, v8
	v_mov_b32_e32 v53, 0
	s_movk_i32 s10, 0x3aee
	v_cndmask_b32_e64 v16, v16, v8, s[2:3]
	s_movk_i32 s2, 0x79
	v_lshlrev_b32_e32 v52, 1, v16
	v_mul_lo_u16_sdwa v16, v11, s2 dst_sel:DWORD dst_unused:UNUSED_PAD src0_sel:BYTE_0 src1_sel:DWORD
	s_mov_b32 s2, 0xf0f1
	v_mul_u32_u24_sdwa v56, v15, s2 dst_sel:DWORD dst_unused:UNUSED_PAD src0_sel:WORD_0 src1_sel:DWORD
	v_lshrrev_b32_e32 v66, 22, v56
	v_mul_lo_u16_e32 v56, 0x44, v66
	v_lshrrev_b16_e32 v51, 13, v16
	v_sub_u16_e32 v15, v15, v56
	v_mul_u32_u24_sdwa v56, v14, s2 dst_sel:DWORD dst_unused:UNUSED_PAD src0_sel:WORD_0 src1_sel:DWORD
	v_mul_lo_u16_e32 v16, 0x44, v51
	v_lshrrev_b32_e32 v67, 22, v56
	v_lshl_add_u64 v[54:55], v[52:53], 2, s[8:9]
	v_sub_u16_e32 v16, v11, v16
	v_mov_b32_e32 v53, 3
	v_mul_lo_u16_e32 v58, 0x44, v67
	v_lshlrev_b32_sdwa v53, v53, v16 dst_sel:DWORD dst_unused:UNUSED_PAD src0_sel:DWORD src1_sel:BYTE_0
	v_sub_u16_e32 v14, v14, v58
	global_load_dwordx2 v[54:55], v[54:55], off offset:204
	v_lshlrev_b32_e32 v62, 3, v15
	global_load_dwordx2 v[56:57], v53, s[8:9] offset:204
	v_lshlrev_b32_e32 v53, 3, v14
	global_load_dwordx2 v[58:59], v62, s[8:9] offset:204
	global_load_dwordx2 v[60:61], v53, s[8:9] offset:204
	v_mul_u32_u24_sdwa v53, v13, s2 dst_sel:DWORD dst_unused:UNUSED_PAD src0_sel:WORD_0 src1_sel:DWORD
	v_mul_u32_u24_sdwa v63, v12, s2 dst_sel:DWORD dst_unused:UNUSED_PAD src0_sel:WORD_0 src1_sel:DWORD
	v_lshrrev_b32_e32 v53, 22, v53
	v_lshrrev_b32_e32 v64, 22, v63
	v_mul_lo_u16_e32 v62, 0x44, v53
	v_mul_lo_u16_e32 v64, 0x44, v64
	v_sub_u16_e32 v13, v13, v62
	v_sub_u16_e32 v68, v12, v64
	v_lshlrev_b32_e32 v62, 3, v13
	v_lshlrev_b32_e32 v12, 3, v68
	global_load_dwordx2 v[62:63], v62, s[8:9] offset:204
	v_lshlrev_b32_e32 v70, 1, v15
	global_load_dwordx2 v[64:65], v12, s[8:9] offset:204
	v_mov_b32_e32 v12, 1
	v_lshlrev_b32_sdwa v69, v12, v16 dst_sel:DWORD dst_unused:UNUSED_PAD src0_sel:DWORD src1_sel:BYTE_0
	v_lshlrev_b32_e32 v72, 1, v13
	v_lshlrev_b32_e32 v71, 1, v14
	s_mov_b32 s11, 0xbaee
	s_movk_i32 s2, 0x43
	v_cmp_lt_u32_e64 s[2:3], s2, v8
	s_waitcnt lgkmcnt(0)
	s_barrier
	s_movk_i32 s12, 0x198
	s_waitcnt vmcnt(5)
	v_mul_f16_sdwa v13, v43, v54 dst_sel:DWORD dst_unused:UNUSED_PAD src0_sel:DWORD src1_sel:WORD_1
	v_mul_f16_sdwa v15, v49, v55 dst_sel:DWORD dst_unused:UNUSED_PAD src0_sel:DWORD src1_sel:WORD_1
	;; [unrolled: 1-line block ×4, first 2 shown]
	v_fma_f16 v14, v50, v54, v13
	v_fma_f16 v13, v42, v55, -v15
	v_fma_f16 v15, v49, v55, v16
	s_waitcnt vmcnt(4)
	v_mul_f16_sdwa v49, v48, v57 dst_sel:DWORD dst_unused:UNUSED_PAD src0_sel:DWORD src1_sel:WORD_1
	s_waitcnt vmcnt(3)
	v_mul_f16_sdwa v74, v47, v59 dst_sel:DWORD dst_unused:UNUSED_PAD src0_sel:DWORD src1_sel:WORD_1
	;; [unrolled: 2-line block ×3, first 2 shown]
	v_fma_f16 v12, v43, v54, -v12
	v_mul_f16_sdwa v54, v41, v57 dst_sel:DWORD dst_unused:UNUSED_PAD src0_sel:DWORD src1_sel:WORD_1
	v_mul_f16_sdwa v75, v40, v59 dst_sel:DWORD dst_unused:UNUSED_PAD src0_sel:DWORD src1_sel:WORD_1
	;; [unrolled: 1-line block ×3, first 2 shown]
	v_fma_f16 v49, v41, v57, -v49
	v_fma_f16 v41, v40, v59, -v74
	v_fma_f16 v40, v29, v60, v77
	s_waitcnt vmcnt(0)
	v_mul_f16_sdwa v84, v1, v64 dst_sel:DWORD dst_unused:UNUSED_PAD src0_sel:DWORD src1_sel:WORD_1
	v_fma_f16 v29, v0, v64, -v84
	v_mul_f16_sdwa v0, v0, v64 dst_sel:DWORD dst_unused:UNUSED_PAD src0_sel:DWORD src1_sel:WORD_1
	v_mul_f16_sdwa v43, v34, v56 dst_sel:DWORD dst_unused:UNUSED_PAD src0_sel:DWORD src1_sel:WORD_1
	;; [unrolled: 1-line block ×3, first 2 shown]
	v_fma_f16 v0, v1, v64, v0
	v_mul_f16_sdwa v1, v44, v65 dst_sel:DWORD dst_unused:UNUSED_PAD src0_sel:DWORD src1_sel:WORD_1
	v_mul_f16_sdwa v16, v39, v56 dst_sel:DWORD dst_unused:UNUSED_PAD src0_sel:DWORD src1_sel:WORD_1
	;; [unrolled: 1-line block ×5, first 2 shown]
	v_fma_f16 v50, v39, v56, v43
	v_fma_f16 v39, v33, v58, -v55
	v_fma_f16 v33, v30, v60, -v76
	;; [unrolled: 1-line block ×3, first 2 shown]
	v_mul_f16_sdwa v30, v38, v65 dst_sel:DWORD dst_unused:UNUSED_PAD src0_sel:DWORD src1_sel:WORD_1
	v_add_f16_e32 v38, v12, v13
	v_mul_f16_sdwa v81, v31, v62 dst_sel:DWORD dst_unused:UNUSED_PAD src0_sel:DWORD src1_sel:WORD_1
	v_mul_f16_sdwa v83, v37, v63 dst_sel:DWORD dst_unused:UNUSED_PAD src0_sel:DWORD src1_sel:WORD_1
	v_fma_f16 v42, v34, v56, -v16
	v_fma_f16 v16, v31, v62, -v80
	;; [unrolled: 1-line block ×3, first 2 shown]
	v_add_f16_e32 v37, v22, v12
	v_fma_f16 v22, v38, -0.5, v22
	v_sub_f16_e32 v38, v14, v15
	v_mul_f16_sdwa v78, v45, v61 dst_sel:DWORD dst_unused:UNUSED_PAD src0_sel:DWORD src1_sel:WORD_1
	v_mul_f16_sdwa v79, v36, v61 dst_sel:DWORD dst_unused:UNUSED_PAD src0_sel:DWORD src1_sel:WORD_1
	v_fma_f16 v30, v44, v65, v30
	v_fma_f16 v44, v38, s10, v22
	v_fma_f16 v22, v38, s11, v22
	v_add_f16_e32 v38, v24, v42
	v_fma_f16 v48, v48, v57, v54
	v_fma_f16 v34, v36, v61, -v78
	v_fma_f16 v36, v45, v61, v79
	v_add_f16_e32 v45, v38, v49
	v_add_f16_e32 v38, v42, v49
	v_fma_f16 v24, v38, -0.5, v24
	v_sub_f16_e32 v38, v50, v48
	v_fma_f16 v43, v35, v58, v73
	v_fma_f16 v35, v46, v63, v83
	;; [unrolled: 1-line block ×4, first 2 shown]
	v_add_f16_e32 v38, v23, v39
	v_fma_f16 v47, v47, v59, v75
	v_add_f16_e32 v54, v38, v41
	v_add_f16_e32 v38, v39, v41
	v_fma_f16 v23, v38, -0.5, v23
	v_sub_f16_e32 v38, v43, v47
	v_fma_f16 v55, v38, s10, v23
	v_fma_f16 v23, v38, s11, v23
	v_add_f16_e32 v38, v21, v33
	v_add_f16_e32 v56, v38, v34
	;; [unrolled: 1-line block ×3, first 2 shown]
	v_fma_f16 v21, v38, -0.5, v21
	v_sub_f16_e32 v38, v40, v36
	v_fma_f16 v57, v38, s10, v21
	v_fma_f16 v21, v38, s11, v21
	v_add_f16_e32 v38, v20, v16
	v_fma_f16 v32, v32, v62, v81
	v_add_f16_e32 v58, v38, v31
	v_add_f16_e32 v38, v16, v31
	v_fma_f16 v20, v38, -0.5, v20
	v_sub_f16_e32 v38, v32, v35
	v_fma_f16 v59, v38, s10, v20
	v_fma_f16 v20, v38, s11, v20
	v_mov_b32_e32 v38, 0x198
	v_cndmask_b32_e64 v38, 0, v38, s[2:3]
	v_add_f16_e32 v37, v37, v13
	v_add3_u32 v38, 0, v38, v52
	ds_write_b16 v38, v37
	ds_write_b16 v38, v44 offset:136
	ds_write_b16 v38, v22 offset:272
	v_mul_u32_u24_e32 v22, 0x198, v51
	s_mov_b32 s2, 0x5040100
	v_add3_u32 v44, 0, v22, v69
	v_perm_b32 v22, v67, v66, s2
	v_pk_mul_lo_u16 v22, v22, s12 op_sel_hi:[1,0]
	ds_write_b16 v44, v45
	ds_write_b16 v44, v46 offset:136
	ds_write_b16 v44, v24 offset:272
	v_and_b32_e32 v24, 0xfff8, v22
	v_lshrrev_b32_e32 v22, 16, v22
	v_add3_u32 v45, 0, v24, v70
	v_add3_u32 v46, 0, v22, v71
	ds_write_b16 v45, v54
	ds_write_b16 v45, v55 offset:136
	ds_write_b16 v45, v23 offset:272
	ds_write_b16 v46, v56
	ds_write_b16 v46, v57 offset:136
	ds_write_b16 v46, v21 offset:272
	v_mul_u32_u24_e32 v21, 0x198, v53
	v_add3_u32 v51, 0, v21, v72
	v_lshl_add_u32 v37, v68, 1, 0
	ds_write_b16 v51, v58
	ds_write_b16 v51, v59 offset:136
	ds_write_b16 v51, v20 offset:272
	s_and_saveexec_b64 s[2:3], s[0:1]
	s_cbranch_execz .LBB0_21
; %bb.20:
	v_add_f16_e32 v20, v29, v1
	v_fma_f16 v20, v20, -0.5, v18
	v_add_f16_e32 v18, v18, v29
	v_sub_f16_e32 v21, v0, v30
	v_add_f16_e32 v18, v18, v1
	v_fma_f16 v22, v21, s11, v20
	v_fma_f16 v20, v21, s10, v20
	ds_write_b16 v37, v18 offset:2856
	ds_write_b16 v37, v20 offset:2992
	;; [unrolled: 1-line block ×3, first 2 shown]
.LBB0_21:
	s_or_b64 exec, exec, s[2:3]
	v_add_f16_e32 v18, v26, v14
	v_add_f16_e32 v14, v14, v15
	v_fma_f16 v14, v14, -0.5, v26
	v_sub_f16_e32 v12, v12, v13
	v_fma_f16 v53, v12, s11, v14
	v_fma_f16 v54, v12, s10, v14
	v_add_f16_e32 v12, v28, v50
	v_add_f16_e32 v55, v12, v48
	v_add_f16_e32 v12, v50, v48
	v_fma_f16 v12, v12, -0.5, v28
	v_sub_f16_e32 v13, v42, v49
	v_fma_f16 v42, v13, s11, v12
	v_fma_f16 v48, v13, s10, v12
	v_add_f16_e32 v12, v27, v43
	;; [unrolled: 7-line block ×4, first 2 shown]
	v_add_f16_e32 v36, v12, v35
	v_add_f16_e32 v12, v32, v35
	v_fma_f16 v12, v12, -0.5, v17
	v_sub_f16_e32 v13, v16, v31
	v_add_f16_e32 v52, v18, v15
	v_fma_f16 v31, v13, s11, v12
	v_fma_f16 v32, v13, s10, v12
	s_waitcnt lgkmcnt(0)
	s_barrier
	ds_read_u16 v13, v9
	ds_read_u16 v14, v10
	;; [unrolled: 1-line block ×3, first 2 shown]
	ds_read_u16 v21, v6 offset:204
	ds_read_u16 v23, v6 offset:612
	;; [unrolled: 1-line block ×7, first 2 shown]
	ds_read_u16 v20, v7
	ds_read_u16 v26, v6 offset:3060
	ds_read_u16 v18, v6 offset:2856
	;; [unrolled: 1-line block ×5, first 2 shown]
	s_waitcnt lgkmcnt(0)
	s_barrier
	ds_write_b16 v38, v52
	ds_write_b16 v38, v53 offset:136
	ds_write_b16 v38, v54 offset:272
	ds_write_b16 v44, v55
	ds_write_b16 v44, v42 offset:136
	ds_write_b16 v44, v48 offset:272
	;; [unrolled: 3-line block ×5, first 2 shown]
	s_and_saveexec_b64 s[2:3], s[0:1]
	s_cbranch_execz .LBB0_23
; %bb.22:
	v_add_f16_e32 v31, v19, v0
	v_add_f16_e32 v0, v0, v30
	v_fma_f16 v0, v0, -0.5, v19
	v_sub_f16_e32 v1, v29, v1
	s_mov_b32 s0, 0xbaee
	v_add_f16_e32 v31, v31, v30
	v_fma_f16 v19, v1, s0, v0
	s_movk_i32 s0, 0x3aee
	v_fma_f16 v0, v1, s0, v0
	ds_write_b16 v37, v31 offset:2856
	ds_write_b16 v37, v19 offset:2992
	;; [unrolled: 1-line block ×3, first 2 shown]
.LBB0_23:
	s_or_b64 exec, exec, s[2:3]
	s_waitcnt lgkmcnt(0)
	s_barrier
	s_and_saveexec_b64 s[0:1], vcc
	s_cbranch_execz .LBB0_25
; %bb.24:
	v_mul_u32_u24_e32 v0, 7, v11
	v_lshlrev_b32_e32 v0, 2, v0
	global_load_dwordx4 v[30:33], v0, s[8:9] offset:748
	global_load_dwordx3 v[34:36], v0, s[8:9] offset:764
	v_mul_lo_u32 v19, s5, v4
	v_mul_lo_u32 v5, s4, v5
	v_mad_u64_u32 v[0:1], s[0:1], s4, v4, 0
	v_mul_u32_u24_e32 v4, 7, v8
	v_add3_u32 v1, v1, v5, v19
	v_lshlrev_b32_e32 v19, 2, v4
	ds_read_u16 v29, v6 offset:2244
	ds_read_u16 v37, v6 offset:1428
	;; [unrolled: 1-line block ×5, first 2 shown]
	ds_read_u16 v10, v10
	ds_read_u16 v9, v9
	;; [unrolled: 1-line block ×3, first 2 shown]
	ds_read_u16 v45, v6 offset:3060
	ds_read_u16 v46, v6 offset:2856
	;; [unrolled: 1-line block ×7, first 2 shown]
	ds_read_u16 v52, v6
	global_load_dwordx4 v[4:7], v19, s[8:9] offset:748
	global_load_dwordx3 v[38:40], v19, s[8:9] offset:764
	s_movk_i32 s0, 0x39a8
	s_mov_b32 s1, 0xb9a8
	v_lshl_add_u64 v[0:1], v[0:1], 2, s[6:7]
	v_lshl_add_u64 v[0:1], v[2:3], 2, v[0:1]
	s_movk_i32 s2, 0x594
	s_waitcnt vmcnt(3) lgkmcnt(12)
	v_mul_f16_sdwa v19, v42, v33 dst_sel:DWORD dst_unused:UNUSED_PAD src0_sel:DWORD src1_sel:WORD_1
	v_mul_f16_sdwa v53, v22, v31 dst_sel:DWORD dst_unused:UNUSED_PAD src0_sel:DWORD src1_sel:WORD_1
	s_waitcnt vmcnt(2)
	v_mul_f16_sdwa v54, v25, v35 dst_sel:DWORD dst_unused:UNUSED_PAD src0_sel:DWORD src1_sel:WORD_1
	s_waitcnt lgkmcnt(2)
	v_mul_f16_sdwa v55, v50, v30 dst_sel:DWORD dst_unused:UNUSED_PAD src0_sel:DWORD src1_sel:WORD_1
	v_mul_f16_sdwa v56, v29, v34 dst_sel:DWORD dst_unused:UNUSED_PAD src0_sel:DWORD src1_sel:WORD_1
	;; [unrolled: 1-line block ×11, first 2 shown]
	v_fma_f16 v19, v27, v33, -v19
	v_fma_f16 v27, v49, v31, v53
	v_fma_f16 v47, v47, v35, v54
	v_fma_f16 v23, v23, v30, -v55
	v_fma_f16 v28, v28, v34, -v56
	v_fma_f16 v37, v37, v32, v57
	v_fma_f16 v45, v45, v36, v58
	v_fma_f16 v24, v24, v32, -v59
	;; [unrolled: 4-line block ×3, first 2 shown]
	v_fma_f16 v31, v33, v42, v65
	v_sub_f16_e32 v19, v21, v19
	v_sub_f16_e32 v32, v27, v47
	;; [unrolled: 1-line block ×4, first 2 shown]
	v_fma_f16 v25, v25, v35, -v64
	v_sub_f16_e32 v26, v24, v26
	v_sub_f16_e32 v29, v30, v29
	;; [unrolled: 1-line block ×5, first 2 shown]
	s_waitcnt lgkmcnt(1)
	v_sub_f16_e32 v31, v51, v31
	v_add_f16_e32 v36, v29, v26
	v_fma_f16 v27, v27, 2.0, -v32
	v_fma_f16 v32, v35, s0, v34
	v_add_f16_e32 v42, v25, v31
	v_fma_f16 v21, v21, 2.0, -v19
	v_fma_f16 v23, v23, 2.0, -v28
	v_fma_f16 v32, v36, s1, v32
	v_fma_f16 v19, v19, 2.0, -v34
	v_fma_f16 v28, v28, 2.0, -v35
	;; [unrolled: 1-line block ×8, first 2 shown]
	v_fma_f16 v34, v28, s1, v19
	v_fma_f16 v29, v29, 2.0, -v36
	v_fma_f16 v31, v31, 2.0, -v42
	v_sub_f16_e32 v22, v21, v22
	v_sub_f16_e32 v30, v25, v30
	v_fma_f16 v34, v29, s1, v34
	v_fma_f16 v29, v29, s1, v31
	;; [unrolled: 1-line block ×3, first 2 shown]
	v_sub_f16_e32 v24, v23, v24
	v_sub_f16_e32 v37, v22, v30
	;; [unrolled: 1-line block ×3, first 2 shown]
	v_fma_f16 v28, v28, s0, v29
	v_fma_f16 v33, v35, s0, v33
	v_fma_f16 v29, v31, 2.0, -v28
	v_fma_f16 v31, v22, 2.0, -v37
	;; [unrolled: 1-line block ×5, first 2 shown]
	s_waitcnt vmcnt(1)
	v_mul_f16_sdwa v26, v13, v5 dst_sel:DWORD dst_unused:UNUSED_PAD src0_sel:DWORD src1_sel:WORD_1
	v_mul_f16_sdwa v50, v14, v6 dst_sel:DWORD dst_unused:UNUSED_PAD src0_sel:DWORD src1_sel:WORD_1
	v_fma_f16 v47, v42, 2.0, -v33
	v_add_f16_e32 v49, v27, v24
	v_fma_f16 v24, v25, 2.0, -v30
	v_mul_f16_sdwa v25, v43, v7 dst_sel:DWORD dst_unused:UNUSED_PAD src0_sel:DWORD src1_sel:WORD_1
	v_fma_f16 v26, v9, v5, v26
	v_mul_f16_sdwa v36, v44, v4 dst_sel:DWORD dst_unused:UNUSED_PAD src0_sel:DWORD src1_sel:WORD_1
	s_waitcnt vmcnt(0)
	v_mul_f16_sdwa v42, v41, v38 dst_sel:DWORD dst_unused:UNUSED_PAD src0_sel:DWORD src1_sel:WORD_1
	v_fma_f16 v50, v10, v6, v50
	v_mul_f16_sdwa v10, v10, v6 dst_sel:DWORD dst_unused:UNUSED_PAD src0_sel:DWORD src1_sel:WORD_1
	v_mul_f16_sdwa v9, v9, v5 dst_sel:DWORD dst_unused:UNUSED_PAD src0_sel:DWORD src1_sel:WORD_1
	v_fma_f16 v35, v27, 2.0, -v49
	v_fma_f16 v25, v15, v7, -v25
	v_mul_f16_sdwa v27, v16, v39 dst_sel:DWORD dst_unused:UNUSED_PAD src0_sel:DWORD src1_sel:WORD_1
	v_fma_f16 v36, v20, v4, -v36
	v_fma_f16 v42, v17, v38, -v42
	v_mul_f16_sdwa v51, v18, v40 dst_sel:DWORD dst_unused:UNUSED_PAD src0_sel:DWORD src1_sel:WORD_1
	v_mul_f16_sdwa v20, v20, v4 dst_sel:DWORD dst_unused:UNUSED_PAD src0_sel:DWORD src1_sel:WORD_1
	;; [unrolled: 1-line block ×3, first 2 shown]
	v_fma_f16 v6, v14, v6, -v10
	v_mul_f16_sdwa v10, v46, v40 dst_sel:DWORD dst_unused:UNUSED_PAD src0_sel:DWORD src1_sel:WORD_1
	v_mul_f16_sdwa v15, v15, v7 dst_sel:DWORD dst_unused:UNUSED_PAD src0_sel:DWORD src1_sel:WORD_1
	v_fma_f16 v5, v13, v5, -v9
	v_mul_f16_sdwa v9, v48, v39 dst_sel:DWORD dst_unused:UNUSED_PAD src0_sel:DWORD src1_sel:WORD_1
	v_fma_f16 v27, v48, v39, v27
	v_fma_f16 v51, v46, v40, v51
	;; [unrolled: 1-line block ×4, first 2 shown]
	v_fma_f16 v10, v18, v40, -v10
	v_fma_f16 v7, v7, v43, v15
	v_fma_f16 v9, v16, v39, -v9
	v_sub_f16_e32 v25, v12, v25
	v_sub_f16_e32 v27, v26, v27
	;; [unrolled: 1-line block ×6, first 2 shown]
	s_waitcnt lgkmcnt(0)
	v_sub_f16_e32 v7, v52, v7
	v_sub_f16_e32 v9, v5, v9
	;; [unrolled: 1-line block ×4, first 2 shown]
	v_add_f16_e32 v14, v17, v10
	v_add_f16_e32 v13, v9, v7
	v_fma_f16 v54, v53, s0, v30
	v_fma_f16 v15, v14, s0, v13
	;; [unrolled: 1-line block ×4, first 2 shown]
	v_fma_f16 v39, v52, 2.0, -v7
	v_fma_f16 v14, v17, 2.0, -v14
	;; [unrolled: 1-line block ×12, first 2 shown]
	v_fma_f16 v13, v14, s1, v7
	v_sub_f16_e32 v5, v12, v5
	v_fma_f16 v4, v4, 2.0, -v17
	v_fma_f16 v9, v50, 2.0, -v51
	v_sub_f16_e32 v26, v39, v26
	v_sub_f16_e32 v6, v27, v6
	v_fma_f16 v36, v30, s1, v25
	v_fma_f16 v13, v30, s0, v13
	v_sub_f16_e32 v9, v4, v9
	v_add_f16_e32 v10, v26, v6
	v_fma_f16 v17, v14, s1, v36
	v_fma_f16 v14, v7, 2.0, -v13
	v_fma_f16 v7, v12, 2.0, -v5
	;; [unrolled: 1-line block ×3, first 2 shown]
	v_sub_f16_e32 v38, v5, v9
	v_sub_f16_e32 v12, v7, v6
	v_fma_f16 v6, v39, 2.0, -v26
	v_fma_f16 v4, v4, 2.0, -v9
	v_sub_f16_e32 v9, v6, v4
	v_fma_f16 v27, v5, 2.0, -v38
	v_mad_u64_u32 v[4:5], s[0:1], s16, v8, 0
	v_fma_f16 v36, v6, 2.0, -v9
	v_mov_b32_e32 v6, v5
	v_fma_f16 v30, v7, 2.0, -v12
	v_mad_u64_u32 v[6:7], s[0:1], s17, v8, v[6:7]
	v_mov_b32_e32 v5, v6
	v_lshl_add_u64 v[2:3], v[4:5], 2, v[0:1]
	v_pack_b32_f16 v4, v30, v36
	v_add_u32_e32 v5, 0xcc, v8
	global_store_dword v[2:3], v4, off
	v_mad_u64_u32 v[2:3], s[0:1], s16, v5, 0
	v_mov_b32_e32 v4, v3
	v_mad_u64_u32 v[4:5], s[0:1], s17, v5, v[4:5]
	v_fma_f16 v25, v25, 2.0, -v17
	v_mov_b32_e32 v3, v4
	v_lshl_add_u64 v[2:3], v[2:3], 2, v[0:1]
	v_pack_b32_f16 v4, v25, v14
	v_add_u32_e32 v5, 0x198, v8
	global_store_dword v[2:3], v4, off
	v_mad_u64_u32 v[2:3], s[0:1], s16, v5, 0
	v_mov_b32_e32 v4, v3
	v_mad_u64_u32 v[4:5], s[0:1], s17, v5, v[4:5]
	v_fma_f16 v26, v26, 2.0, -v10
	v_mov_b32_e32 v3, v4
	v_lshl_add_u64 v[2:3], v[2:3], 2, v[0:1]
	v_pack_b32_f16 v4, v27, v26
	v_add_u32_e32 v5, 0x264, v8
	global_store_dword v[2:3], v4, off
	v_mad_u64_u32 v[2:3], s[0:1], s16, v5, 0
	v_mov_b32_e32 v4, v3
	v_mad_u64_u32 v[4:5], s[0:1], s17, v5, v[4:5]
	v_mov_b32_e32 v3, v4
	v_lshl_add_u64 v[2:3], v[2:3], 2, v[0:1]
	v_pack_b32_f16 v4, v20, v16
	v_add_u32_e32 v5, 0x330, v8
	global_store_dword v[2:3], v4, off
	v_mad_u64_u32 v[2:3], s[0:1], s16, v5, 0
	v_mov_b32_e32 v4, v3
	v_mad_u64_u32 v[4:5], s[0:1], s17, v5, v[4:5]
	v_mov_b32_e32 v3, v4
	v_lshl_add_u64 v[2:3], v[2:3], 2, v[0:1]
	v_pack_b32_f16 v4, v12, v9
	v_add_u32_e32 v5, 0x3fc, v8
	global_store_dword v[2:3], v4, off
	v_mad_u64_u32 v[2:3], s[0:1], s16, v5, 0
	v_mov_b32_e32 v4, v3
	v_mad_u64_u32 v[4:5], s[0:1], s17, v5, v[4:5]
	v_mov_b32_e32 v3, v4
	v_lshl_add_u64 v[2:3], v[2:3], 2, v[0:1]
	v_pack_b32_f16 v4, v17, v13
	v_add_u32_e32 v5, 0x4c8, v8
	global_store_dword v[2:3], v4, off
	v_mad_u64_u32 v[2:3], s[0:1], s16, v5, 0
	v_mov_b32_e32 v4, v3
	v_mad_u64_u32 v[4:5], s[0:1], s17, v5, v[4:5]
	v_mov_b32_e32 v3, v4
	v_lshl_add_u64 v[2:3], v[2:3], 2, v[0:1]
	v_pack_b32_f16 v4, v38, v10
	v_add_u32_e32 v5, 0x594, v8
	global_store_dword v[2:3], v4, off
	v_mad_u64_u32 v[2:3], s[0:1], s16, v5, 0
	v_mov_b32_e32 v4, v3
	v_mad_u64_u32 v[4:5], s[0:1], s17, v5, v[4:5]
	v_mov_b32_e32 v3, v4
	v_lshl_add_u64 v[2:3], v[2:3], 2, v[0:1]
	v_pack_b32_f16 v4, v18, v15
	s_mov_b32 s0, 0xa0a0a0a1
	global_store_dword v[2:3], v4, off
	v_mul_hi_u32 v2, v11, s0
	v_lshrrev_b32_e32 v2, 7, v2
	v_mad_u32_u24 v6, v2, s2, v11
	v_mad_u64_u32 v[2:3], s[0:1], s16, v6, 0
	v_mov_b32_e32 v4, v3
	v_sub_f16_e32 v22, v21, v22
	v_sub_f16_e32 v24, v23, v24
	v_mad_u64_u32 v[4:5], s[0:1], s17, v6, v[4:5]
	v_fma_f16 v21, v21, 2.0, -v22
	v_fma_f16 v23, v23, 2.0, -v24
	v_mov_b32_e32 v3, v4
	v_lshl_add_u64 v[2:3], v[2:3], 2, v[0:1]
	v_pack_b32_f16 v4, v21, v23
	v_add_u32_e32 v5, 0xcc, v6
	global_store_dword v[2:3], v4, off
	v_mad_u64_u32 v[2:3], s[0:1], s16, v5, 0
	v_mov_b32_e32 v4, v3
	v_mad_u64_u32 v[4:5], s[0:1], s17, v5, v[4:5]
	v_fma_f16 v19, v19, 2.0, -v34
	v_mov_b32_e32 v3, v4
	v_lshl_add_u64 v[2:3], v[2:3], 2, v[0:1]
	v_pack_b32_f16 v4, v19, v29
	v_add_u32_e32 v5, 0x198, v6
	global_store_dword v[2:3], v4, off
	v_mad_u64_u32 v[2:3], s[0:1], s16, v5, 0
	v_mov_b32_e32 v4, v3
	v_mad_u64_u32 v[4:5], s[0:1], s17, v5, v[4:5]
	v_mov_b32_e32 v3, v4
	v_lshl_add_u64 v[2:3], v[2:3], 2, v[0:1]
	v_pack_b32_f16 v4, v31, v35
	v_add_u32_e32 v5, 0x264, v6
	global_store_dword v[2:3], v4, off
	v_mad_u64_u32 v[2:3], s[0:1], s16, v5, 0
	v_mov_b32_e32 v4, v3
	v_mad_u64_u32 v[4:5], s[0:1], s17, v5, v[4:5]
	;; [unrolled: 8-line block ×6, first 2 shown]
	v_mov_b32_e32 v3, v4
	v_lshl_add_u64 v[0:1], v[2:3], 2, v[0:1]
	v_pack_b32_f16 v2, v32, v33
	global_store_dword v[0:1], v2, off
.LBB0_25:
	s_endpgm
	.section	.rodata,"a",@progbits
	.p2align	6, 0x0
	.amdhsa_kernel fft_rtc_fwd_len1632_factors_17_2_2_3_8_wgs_102_tpt_102_halfLds_half_op_CI_CI_sbrr_dirReg
		.amdhsa_group_segment_fixed_size 0
		.amdhsa_private_segment_fixed_size 0
		.amdhsa_kernarg_size 104
		.amdhsa_user_sgpr_count 2
		.amdhsa_user_sgpr_dispatch_ptr 0
		.amdhsa_user_sgpr_queue_ptr 0
		.amdhsa_user_sgpr_kernarg_segment_ptr 1
		.amdhsa_user_sgpr_dispatch_id 0
		.amdhsa_user_sgpr_kernarg_preload_length 0
		.amdhsa_user_sgpr_kernarg_preload_offset 0
		.amdhsa_user_sgpr_private_segment_size 0
		.amdhsa_uses_dynamic_stack 0
		.amdhsa_enable_private_segment 0
		.amdhsa_system_sgpr_workgroup_id_x 1
		.amdhsa_system_sgpr_workgroup_id_y 0
		.amdhsa_system_sgpr_workgroup_id_z 0
		.amdhsa_system_sgpr_workgroup_info 0
		.amdhsa_system_vgpr_workitem_id 0
		.amdhsa_next_free_vgpr 101
		.amdhsa_next_free_sgpr 46
		.amdhsa_accum_offset 104
		.amdhsa_reserve_vcc 1
		.amdhsa_float_round_mode_32 0
		.amdhsa_float_round_mode_16_64 0
		.amdhsa_float_denorm_mode_32 3
		.amdhsa_float_denorm_mode_16_64 3
		.amdhsa_dx10_clamp 1
		.amdhsa_ieee_mode 1
		.amdhsa_fp16_overflow 0
		.amdhsa_tg_split 0
		.amdhsa_exception_fp_ieee_invalid_op 0
		.amdhsa_exception_fp_denorm_src 0
		.amdhsa_exception_fp_ieee_div_zero 0
		.amdhsa_exception_fp_ieee_overflow 0
		.amdhsa_exception_fp_ieee_underflow 0
		.amdhsa_exception_fp_ieee_inexact 0
		.amdhsa_exception_int_div_zero 0
	.end_amdhsa_kernel
	.text
.Lfunc_end0:
	.size	fft_rtc_fwd_len1632_factors_17_2_2_3_8_wgs_102_tpt_102_halfLds_half_op_CI_CI_sbrr_dirReg, .Lfunc_end0-fft_rtc_fwd_len1632_factors_17_2_2_3_8_wgs_102_tpt_102_halfLds_half_op_CI_CI_sbrr_dirReg
                                        ; -- End function
	.section	.AMDGPU.csdata,"",@progbits
; Kernel info:
; codeLenInByte = 14952
; NumSgprs: 52
; NumVgprs: 101
; NumAgprs: 0
; TotalNumVgprs: 101
; ScratchSize: 0
; MemoryBound: 0
; FloatMode: 240
; IeeeMode: 1
; LDSByteSize: 0 bytes/workgroup (compile time only)
; SGPRBlocks: 6
; VGPRBlocks: 12
; NumSGPRsForWavesPerEU: 52
; NumVGPRsForWavesPerEU: 101
; AccumOffset: 104
; Occupancy: 4
; WaveLimiterHint : 1
; COMPUTE_PGM_RSRC2:SCRATCH_EN: 0
; COMPUTE_PGM_RSRC2:USER_SGPR: 2
; COMPUTE_PGM_RSRC2:TRAP_HANDLER: 0
; COMPUTE_PGM_RSRC2:TGID_X_EN: 1
; COMPUTE_PGM_RSRC2:TGID_Y_EN: 0
; COMPUTE_PGM_RSRC2:TGID_Z_EN: 0
; COMPUTE_PGM_RSRC2:TIDIG_COMP_CNT: 0
; COMPUTE_PGM_RSRC3_GFX90A:ACCUM_OFFSET: 25
; COMPUTE_PGM_RSRC3_GFX90A:TG_SPLIT: 0
	.text
	.p2alignl 6, 3212836864
	.fill 256, 4, 3212836864
	.type	__hip_cuid_8562a28800bff0ae,@object ; @__hip_cuid_8562a28800bff0ae
	.section	.bss,"aw",@nobits
	.globl	__hip_cuid_8562a28800bff0ae
__hip_cuid_8562a28800bff0ae:
	.byte	0                               ; 0x0
	.size	__hip_cuid_8562a28800bff0ae, 1

	.ident	"AMD clang version 19.0.0git (https://github.com/RadeonOpenCompute/llvm-project roc-6.4.0 25133 c7fe45cf4b819c5991fe208aaa96edf142730f1d)"
	.section	".note.GNU-stack","",@progbits
	.addrsig
	.addrsig_sym __hip_cuid_8562a28800bff0ae
	.amdgpu_metadata
---
amdhsa.kernels:
  - .agpr_count:     0
    .args:
      - .actual_access:  read_only
        .address_space:  global
        .offset:         0
        .size:           8
        .value_kind:     global_buffer
      - .offset:         8
        .size:           8
        .value_kind:     by_value
      - .actual_access:  read_only
        .address_space:  global
        .offset:         16
        .size:           8
        .value_kind:     global_buffer
      - .actual_access:  read_only
        .address_space:  global
        .offset:         24
        .size:           8
        .value_kind:     global_buffer
      - .actual_access:  read_only
        .address_space:  global
        .offset:         32
        .size:           8
        .value_kind:     global_buffer
      - .offset:         40
        .size:           8
        .value_kind:     by_value
      - .actual_access:  read_only
        .address_space:  global
        .offset:         48
        .size:           8
        .value_kind:     global_buffer
      - .actual_access:  read_only
        .address_space:  global
        .offset:         56
        .size:           8
        .value_kind:     global_buffer
      - .offset:         64
        .size:           4
        .value_kind:     by_value
      - .actual_access:  read_only
        .address_space:  global
        .offset:         72
        .size:           8
        .value_kind:     global_buffer
      - .actual_access:  read_only
        .address_space:  global
        .offset:         80
        .size:           8
        .value_kind:     global_buffer
      - .actual_access:  read_only
        .address_space:  global
        .offset:         88
        .size:           8
        .value_kind:     global_buffer
      - .actual_access:  write_only
        .address_space:  global
        .offset:         96
        .size:           8
        .value_kind:     global_buffer
    .group_segment_fixed_size: 0
    .kernarg_segment_align: 8
    .kernarg_segment_size: 104
    .language:       OpenCL C
    .language_version:
      - 2
      - 0
    .max_flat_workgroup_size: 102
    .name:           fft_rtc_fwd_len1632_factors_17_2_2_3_8_wgs_102_tpt_102_halfLds_half_op_CI_CI_sbrr_dirReg
    .private_segment_fixed_size: 0
    .sgpr_count:     52
    .sgpr_spill_count: 0
    .symbol:         fft_rtc_fwd_len1632_factors_17_2_2_3_8_wgs_102_tpt_102_halfLds_half_op_CI_CI_sbrr_dirReg.kd
    .uniform_work_group_size: 1
    .uses_dynamic_stack: false
    .vgpr_count:     101
    .vgpr_spill_count: 0
    .wavefront_size: 64
amdhsa.target:   amdgcn-amd-amdhsa--gfx950
amdhsa.version:
  - 1
  - 2
...

	.end_amdgpu_metadata
